;; amdgpu-corpus repo=ROCm/rocFFT kind=compiled arch=gfx906 opt=O3
	.text
	.amdgcn_target "amdgcn-amd-amdhsa--gfx906"
	.amdhsa_code_object_version 6
	.protected	fft_rtc_back_len1092_factors_2_2_13_7_3_wgs_52_tpt_52_halfLds_half_op_CI_CI_unitstride_sbrr_R2C_dirReg ; -- Begin function fft_rtc_back_len1092_factors_2_2_13_7_3_wgs_52_tpt_52_halfLds_half_op_CI_CI_unitstride_sbrr_R2C_dirReg
	.globl	fft_rtc_back_len1092_factors_2_2_13_7_3_wgs_52_tpt_52_halfLds_half_op_CI_CI_unitstride_sbrr_R2C_dirReg
	.p2align	8
	.type	fft_rtc_back_len1092_factors_2_2_13_7_3_wgs_52_tpt_52_halfLds_half_op_CI_CI_unitstride_sbrr_R2C_dirReg,@function
fft_rtc_back_len1092_factors_2_2_13_7_3_wgs_52_tpt_52_halfLds_half_op_CI_CI_unitstride_sbrr_R2C_dirReg: ; @fft_rtc_back_len1092_factors_2_2_13_7_3_wgs_52_tpt_52_halfLds_half_op_CI_CI_unitstride_sbrr_R2C_dirReg
; %bb.0:
	s_load_dwordx4 s[8:11], s[4:5], 0x58
	s_load_dwordx4 s[12:15], s[4:5], 0x0
	;; [unrolled: 1-line block ×3, first 2 shown]
	v_mul_u32_u24_e32 v1, 0x4ed, v0
	v_add_u32_sdwa v5, s6, v1 dst_sel:DWORD dst_unused:UNUSED_PAD src0_sel:DWORD src1_sel:WORD_1
	v_mov_b32_e32 v3, 0
	s_waitcnt lgkmcnt(0)
	v_cmp_lt_u64_e64 s[0:1], s[14:15], 2
	v_mov_b32_e32 v1, 0
	v_mov_b32_e32 v6, v3
	s_and_b64 vcc, exec, s[0:1]
	v_mov_b32_e32 v2, 0
	s_cbranch_vccnz .LBB0_8
; %bb.1:
	s_load_dwordx2 s[0:1], s[4:5], 0x10
	s_add_u32 s2, s18, 8
	s_addc_u32 s3, s19, 0
	s_add_u32 s6, s16, 8
	v_mov_b32_e32 v1, 0
	s_addc_u32 s7, s17, 0
	v_mov_b32_e32 v2, 0
	s_waitcnt lgkmcnt(0)
	s_add_u32 s20, s0, 8
	v_mov_b32_e32 v13, v2
	s_addc_u32 s21, s1, 0
	s_mov_b64 s[22:23], 1
	v_mov_b32_e32 v12, v1
.LBB0_2:                                ; =>This Inner Loop Header: Depth=1
	s_load_dwordx2 s[24:25], s[20:21], 0x0
                                        ; implicit-def: $vgpr16_vgpr17
	s_waitcnt lgkmcnt(0)
	v_or_b32_e32 v4, s25, v6
	v_cmp_ne_u64_e32 vcc, 0, v[3:4]
	s_and_saveexec_b64 s[0:1], vcc
	s_xor_b64 s[26:27], exec, s[0:1]
	s_cbranch_execz .LBB0_4
; %bb.3:                                ;   in Loop: Header=BB0_2 Depth=1
	v_cvt_f32_u32_e32 v4, s24
	v_cvt_f32_u32_e32 v7, s25
	s_sub_u32 s0, 0, s24
	s_subb_u32 s1, 0, s25
	v_mac_f32_e32 v4, 0x4f800000, v7
	v_rcp_f32_e32 v4, v4
	v_mul_f32_e32 v4, 0x5f7ffffc, v4
	v_mul_f32_e32 v7, 0x2f800000, v4
	v_trunc_f32_e32 v7, v7
	v_mac_f32_e32 v4, 0xcf800000, v7
	v_cvt_u32_f32_e32 v7, v7
	v_cvt_u32_f32_e32 v4, v4
	v_mul_lo_u32 v8, s0, v7
	v_mul_hi_u32 v9, s0, v4
	v_mul_lo_u32 v11, s1, v4
	v_mul_lo_u32 v10, s0, v4
	v_add_u32_e32 v8, v9, v8
	v_add_u32_e32 v8, v8, v11
	v_mul_hi_u32 v9, v4, v10
	v_mul_lo_u32 v11, v4, v8
	v_mul_hi_u32 v15, v4, v8
	v_mul_hi_u32 v14, v7, v10
	v_mul_lo_u32 v10, v7, v10
	v_mul_hi_u32 v16, v7, v8
	v_add_co_u32_e32 v9, vcc, v9, v11
	v_addc_co_u32_e32 v11, vcc, 0, v15, vcc
	v_mul_lo_u32 v8, v7, v8
	v_add_co_u32_e32 v9, vcc, v9, v10
	v_addc_co_u32_e32 v9, vcc, v11, v14, vcc
	v_addc_co_u32_e32 v10, vcc, 0, v16, vcc
	v_add_co_u32_e32 v8, vcc, v9, v8
	v_addc_co_u32_e32 v9, vcc, 0, v10, vcc
	v_add_co_u32_e32 v4, vcc, v4, v8
	v_addc_co_u32_e32 v7, vcc, v7, v9, vcc
	v_mul_lo_u32 v8, s0, v7
	v_mul_hi_u32 v9, s0, v4
	v_mul_lo_u32 v10, s1, v4
	v_mul_lo_u32 v11, s0, v4
	v_add_u32_e32 v8, v9, v8
	v_add_u32_e32 v8, v8, v10
	v_mul_lo_u32 v14, v4, v8
	v_mul_hi_u32 v15, v4, v11
	v_mul_hi_u32 v16, v4, v8
	v_mul_hi_u32 v10, v7, v11
	v_mul_lo_u32 v11, v7, v11
	v_mul_hi_u32 v9, v7, v8
	v_add_co_u32_e32 v14, vcc, v15, v14
	v_addc_co_u32_e32 v15, vcc, 0, v16, vcc
	v_mul_lo_u32 v8, v7, v8
	v_add_co_u32_e32 v11, vcc, v14, v11
	v_addc_co_u32_e32 v10, vcc, v15, v10, vcc
	v_addc_co_u32_e32 v9, vcc, 0, v9, vcc
	v_add_co_u32_e32 v8, vcc, v10, v8
	v_addc_co_u32_e32 v9, vcc, 0, v9, vcc
	v_add_co_u32_e32 v4, vcc, v4, v8
	v_addc_co_u32_e32 v9, vcc, v7, v9, vcc
	v_mad_u64_u32 v[7:8], s[0:1], v5, v9, 0
	v_mul_hi_u32 v10, v5, v4
	v_add_co_u32_e32 v11, vcc, v10, v7
	v_addc_co_u32_e32 v14, vcc, 0, v8, vcc
	v_mad_u64_u32 v[7:8], s[0:1], v6, v4, 0
	v_mad_u64_u32 v[9:10], s[0:1], v6, v9, 0
	v_add_co_u32_e32 v4, vcc, v11, v7
	v_addc_co_u32_e32 v4, vcc, v14, v8, vcc
	v_addc_co_u32_e32 v7, vcc, 0, v10, vcc
	v_add_co_u32_e32 v4, vcc, v4, v9
	v_addc_co_u32_e32 v9, vcc, 0, v7, vcc
	v_mul_lo_u32 v10, s25, v4
	v_mul_lo_u32 v11, s24, v9
	v_mad_u64_u32 v[7:8], s[0:1], s24, v4, 0
	v_add3_u32 v8, v8, v11, v10
	v_sub_u32_e32 v10, v6, v8
	v_mov_b32_e32 v11, s25
	v_sub_co_u32_e32 v7, vcc, v5, v7
	v_subb_co_u32_e64 v10, s[0:1], v10, v11, vcc
	v_subrev_co_u32_e64 v11, s[0:1], s24, v7
	v_subbrev_co_u32_e64 v10, s[0:1], 0, v10, s[0:1]
	v_cmp_le_u32_e64 s[0:1], s25, v10
	v_cndmask_b32_e64 v14, 0, -1, s[0:1]
	v_cmp_le_u32_e64 s[0:1], s24, v11
	v_cndmask_b32_e64 v11, 0, -1, s[0:1]
	v_cmp_eq_u32_e64 s[0:1], s25, v10
	v_cndmask_b32_e64 v10, v14, v11, s[0:1]
	v_add_co_u32_e64 v11, s[0:1], 2, v4
	v_addc_co_u32_e64 v14, s[0:1], 0, v9, s[0:1]
	v_add_co_u32_e64 v15, s[0:1], 1, v4
	v_addc_co_u32_e64 v16, s[0:1], 0, v9, s[0:1]
	v_subb_co_u32_e32 v8, vcc, v6, v8, vcc
	v_cmp_ne_u32_e64 s[0:1], 0, v10
	v_cmp_le_u32_e32 vcc, s25, v8
	v_cndmask_b32_e64 v10, v16, v14, s[0:1]
	v_cndmask_b32_e64 v14, 0, -1, vcc
	v_cmp_le_u32_e32 vcc, s24, v7
	v_cndmask_b32_e64 v7, 0, -1, vcc
	v_cmp_eq_u32_e32 vcc, s25, v8
	v_cndmask_b32_e32 v7, v14, v7, vcc
	v_cmp_ne_u32_e32 vcc, 0, v7
	v_cndmask_b32_e64 v7, v15, v11, s[0:1]
	v_cndmask_b32_e32 v17, v9, v10, vcc
	v_cndmask_b32_e32 v16, v4, v7, vcc
.LBB0_4:                                ;   in Loop: Header=BB0_2 Depth=1
	s_andn2_saveexec_b64 s[0:1], s[26:27]
	s_cbranch_execz .LBB0_6
; %bb.5:                                ;   in Loop: Header=BB0_2 Depth=1
	v_cvt_f32_u32_e32 v4, s24
	s_sub_i32 s26, 0, s24
	v_mov_b32_e32 v17, v3
	v_rcp_iflag_f32_e32 v4, v4
	v_mul_f32_e32 v4, 0x4f7ffffe, v4
	v_cvt_u32_f32_e32 v4, v4
	v_mul_lo_u32 v7, s26, v4
	v_mul_hi_u32 v7, v4, v7
	v_add_u32_e32 v4, v4, v7
	v_mul_hi_u32 v4, v5, v4
	v_mul_lo_u32 v7, v4, s24
	v_add_u32_e32 v8, 1, v4
	v_sub_u32_e32 v7, v5, v7
	v_subrev_u32_e32 v9, s24, v7
	v_cmp_le_u32_e32 vcc, s24, v7
	v_cndmask_b32_e32 v7, v7, v9, vcc
	v_cndmask_b32_e32 v4, v4, v8, vcc
	v_add_u32_e32 v8, 1, v4
	v_cmp_le_u32_e32 vcc, s24, v7
	v_cndmask_b32_e32 v16, v4, v8, vcc
.LBB0_6:                                ;   in Loop: Header=BB0_2 Depth=1
	s_or_b64 exec, exec, s[0:1]
	v_mul_lo_u32 v4, v17, s24
	v_mul_lo_u32 v9, v16, s25
	v_mad_u64_u32 v[7:8], s[0:1], v16, s24, 0
	s_load_dwordx2 s[0:1], s[6:7], 0x0
	s_load_dwordx2 s[24:25], s[2:3], 0x0
	v_add3_u32 v4, v8, v9, v4
	v_sub_co_u32_e32 v5, vcc, v5, v7
	v_subb_co_u32_e32 v4, vcc, v6, v4, vcc
	s_waitcnt lgkmcnt(0)
	v_mul_lo_u32 v6, s0, v4
	v_mul_lo_u32 v7, s1, v5
	v_mad_u64_u32 v[1:2], s[0:1], s0, v5, v[1:2]
	v_mul_lo_u32 v4, s24, v4
	v_mul_lo_u32 v8, s25, v5
	v_mad_u64_u32 v[12:13], s[0:1], s24, v5, v[12:13]
	s_add_u32 s22, s22, 1
	s_addc_u32 s23, s23, 0
	s_add_u32 s2, s2, 8
	v_add3_u32 v13, v8, v13, v4
	s_addc_u32 s3, s3, 0
	v_mov_b32_e32 v4, s14
	s_add_u32 s6, s6, 8
	v_mov_b32_e32 v5, s15
	s_addc_u32 s7, s7, 0
	v_cmp_ge_u64_e32 vcc, s[22:23], v[4:5]
	s_add_u32 s20, s20, 8
	v_add3_u32 v2, v7, v2, v6
	s_addc_u32 s21, s21, 0
	s_cbranch_vccnz .LBB0_9
; %bb.7:                                ;   in Loop: Header=BB0_2 Depth=1
	v_mov_b32_e32 v5, v16
	v_mov_b32_e32 v6, v17
	s_branch .LBB0_2
.LBB0_8:
	v_mov_b32_e32 v13, v2
	v_mov_b32_e32 v17, v6
	;; [unrolled: 1-line block ×4, first 2 shown]
.LBB0_9:
	s_load_dwordx2 s[4:5], s[4:5], 0x28
	s_lshl_b64 s[6:7], s[14:15], 3
	s_add_u32 s2, s18, s6
	s_addc_u32 s3, s19, s7
                                        ; implicit-def: $vgpr14
                                        ; implicit-def: $vgpr18
                                        ; implicit-def: $vgpr33
                                        ; implicit-def: $vgpr22
                                        ; implicit-def: $vgpr24
                                        ; implicit-def: $vgpr26
                                        ; implicit-def: $vgpr28
                                        ; implicit-def: $vgpr30
                                        ; implicit-def: $vgpr32
                                        ; implicit-def: $vgpr21
                                        ; implicit-def: $vgpr20
	s_waitcnt lgkmcnt(0)
	v_cmp_gt_u64_e64 s[0:1], s[4:5], v[16:17]
	v_cmp_le_u64_e32 vcc, s[4:5], v[16:17]
	s_and_saveexec_b64 s[4:5], vcc
	s_xor_b64 s[4:5], exec, s[4:5]
	s_cbranch_execz .LBB0_11
; %bb.10:
	s_mov_b32 s14, 0x4ec4ec5
	v_mul_hi_u32 v1, v0, s14
	v_mul_u32_u24_e32 v1, 52, v1
	v_sub_u32_e32 v14, v0, v1
	v_add_u32_e32 v18, 52, v14
	v_add_u32_e32 v33, 0x68, v14
	;; [unrolled: 1-line block ×10, first 2 shown]
                                        ; implicit-def: $vgpr0
                                        ; implicit-def: $vgpr1_vgpr2
.LBB0_11:
	s_andn2_saveexec_b64 s[4:5], s[4:5]
	s_cbranch_execz .LBB0_13
; %bb.12:
	s_add_u32 s6, s16, s6
	s_addc_u32 s7, s17, s7
	s_load_dwordx2 s[6:7], s[6:7], 0x0
	s_mov_b32 s14, 0x4ec4ec5
	v_mul_hi_u32 v5, v0, s14
	s_waitcnt lgkmcnt(0)
	v_mul_lo_u32 v6, s7, v16
	v_mul_lo_u32 v7, s6, v17
	v_mad_u64_u32 v[3:4], s[6:7], s6, v16, 0
	v_mul_u32_u24_e32 v5, 52, v5
	v_sub_u32_e32 v14, v0, v5
	v_add3_u32 v4, v4, v7, v6
	v_lshlrev_b64 v[3:4], 2, v[3:4]
	v_mov_b32_e32 v0, s9
	v_add_co_u32_e32 v3, vcc, s8, v3
	v_addc_co_u32_e32 v4, vcc, v0, v4, vcc
	v_lshlrev_b64 v[0:1], 2, v[1:2]
	v_add_u32_e32 v18, 52, v14
	v_add_co_u32_e32 v0, vcc, v3, v0
	v_addc_co_u32_e32 v1, vcc, v4, v1, vcc
	v_lshlrev_b32_e32 v4, 2, v14
	v_add_co_u32_e32 v0, vcc, v0, v4
	v_addc_co_u32_e32 v1, vcc, 0, v1, vcc
	v_add_co_u32_e32 v2, vcc, 0x1000, v0
	global_load_dword v5, v[0:1], off offset:832
	global_load_dword v6, v[0:1], off offset:1040
	global_load_dword v7, v[0:1], off offset:1248
	global_load_dword v8, v[0:1], off offset:1456
	global_load_dword v9, v[0:1], off offset:1664
	global_load_dword v10, v[0:1], off offset:1872
	global_load_dword v11, v[0:1], off offset:2080
	global_load_dword v15, v[0:1], off offset:2288
	global_load_dword v19, v[0:1], off offset:2496
	global_load_dword v20, v[0:1], off offset:2704
	global_load_dword v23, v[0:1], off offset:2912
	global_load_dword v25, v[0:1], off offset:3120
	global_load_dword v27, v[0:1], off offset:3328
	global_load_dword v29, v[0:1], off offset:3536
	global_load_dword v31, v[0:1], off offset:3744
	global_load_dword v34, v[0:1], off offset:3952
	v_addc_co_u32_e32 v3, vcc, 0, v1, vcc
	global_load_dword v35, v[0:1], off
	global_load_dword v36, v[0:1], off offset:208
	global_load_dword v37, v[0:1], off offset:416
	;; [unrolled: 1-line block ×4, first 2 shown]
	v_add_u32_e32 v0, 0, v4
	v_add_u32_e32 v1, 0x200, v0
	;; [unrolled: 1-line block ×14, first 2 shown]
	s_waitcnt vmcnt(19)
	ds_write2_b32 v1, v5, v6 offset0:80 offset1:132
	s_waitcnt vmcnt(17)
	ds_write2_b32 v2, v7, v8 offset0:56 offset1:108
	s_waitcnt vmcnt(15)
	ds_write2_b32 v2, v9, v10 offset0:160 offset1:212
	s_waitcnt vmcnt(13)
	ds_write2_b32 v3, v11, v15 offset0:8 offset1:60
	s_waitcnt vmcnt(11)
	ds_write2_b32 v3, v19, v20 offset0:112 offset1:164
	s_waitcnt vmcnt(9)
	ds_write2_b32 v4, v23, v25 offset0:88 offset1:140
	s_waitcnt vmcnt(7)
	ds_write2_b32 v40, v27, v29 offset0:64 offset1:116
	s_waitcnt vmcnt(5)
	ds_write2_b32 v40, v31, v34 offset0:168 offset1:220
	s_waitcnt vmcnt(3)
	ds_write2_b32 v0, v35, v36 offset1:52
	s_waitcnt vmcnt(1)
	ds_write2_b32 v0, v37, v38 offset0:104 offset1:156
	s_waitcnt vmcnt(0)
	ds_write_b32 v0, v39 offset:4160
	v_add_u32_e32 v20, 0x208, v14
.LBB0_13:
	s_or_b64 exec, exec, s[4:5]
	v_lshlrev_b32_e32 v15, 2, v14
	v_add_u32_e32 v23, 0, v15
	v_add_u32_e32 v1, 0xe00, v23
	;; [unrolled: 1-line block ×4, first 2 shown]
	s_load_dwordx2 s[4:5], s[2:3], 0x0
	s_waitcnt lgkmcnt(0)
	; wave barrier
	s_waitcnt lgkmcnt(0)
	v_add_u32_e32 v0, 0x800, v23
	ds_read2_b32 v[2:3], v1 offset0:118 offset1:170
	v_add_u32_e32 v1, 0xc00, v23
	ds_read2_b32 v[4:5], v6 offset0:160 offset1:212
	ds_read2_b32 v[6:7], v6 offset0:56 offset1:108
	;; [unrolled: 1-line block ×8, first 2 shown]
	ds_read2_b32 v[10:11], v23 offset1:52
	ds_read2_b32 v[44:45], v0 offset0:86 offset1:138
	v_add_u32_e32 v19, v23, v15
	s_waitcnt lgkmcnt(0)
	; wave barrier
	s_waitcnt lgkmcnt(0)
	v_pk_add_f16 v25, v10, v35 neg_lo:[0,1] neg_hi:[0,1]
	v_pk_fma_f16 v10, v10, 2.0, v25 op_sel_hi:[1,0,1] neg_lo:[0,0,1] neg_hi:[0,0,1]
	ds_write2_b32 v19, v10, v25 offset1:1
	v_pk_add_f16 v19, v11, v44 neg_lo:[0,1] neg_hi:[0,1]
	v_pk_fma_f16 v11, v11, 2.0, v19 op_sel_hi:[1,0,1] neg_lo:[0,0,1] neg_hi:[0,0,1]
	v_lshl_add_u32 v10, v18, 3, 0
	ds_write2_b32 v10, v11, v19 offset1:1
	v_pk_add_f16 v11, v42, v45 neg_lo:[0,1] neg_hi:[0,1]
	v_lshl_add_u32 v31, v33, 3, 0
	v_pk_fma_f16 v19, v42, 2.0, v11 op_sel_hi:[1,0,1] neg_lo:[0,0,1] neg_hi:[0,0,1]
	ds_write2_b32 v31, v19, v11 offset1:1
	v_pk_add_f16 v11, v43, v40 neg_lo:[0,1] neg_hi:[0,1]
	v_pk_fma_f16 v19, v43, 2.0, v11 op_sel_hi:[1,0,1] neg_lo:[0,0,1] neg_hi:[0,0,1]
	v_lshl_add_u32 v35, v22, 3, 0
	ds_write2_b32 v35, v19, v11 offset1:1
	v_pk_add_f16 v11, v8, v41 neg_lo:[0,1] neg_hi:[0,1]
	v_lshl_add_u32 v27, v24, 3, 0
	;; [unrolled: 8-line block ×4, first 2 shown]
	v_pk_fma_f16 v4, v4, 2.0, v6 op_sel_hi:[1,0,1] neg_lo:[0,0,1] neg_hi:[0,0,1]
	v_pk_add_f16 v2, v5, v2 neg_lo:[0,1] neg_hi:[0,1]
	v_pk_add_f16 v42, v34, v3 neg_lo:[0,1] neg_hi:[0,1]
	ds_write2_b32 v66, v4, v6 offset1:1
	v_pk_fma_f16 v4, v5, 2.0, v2 op_sel_hi:[1,0,1] neg_lo:[0,0,1] neg_hi:[0,0,1]
	v_lshl_add_u32 v70, v21, 3, 0
	v_pk_fma_f16 v44, v34, 2.0, v42 op_sel_hi:[1,0,1] neg_lo:[0,0,1] neg_hi:[0,0,1]
	v_cmp_gt_u32_e32 vcc, 26, v14
	ds_write2_b32 v70, v4, v2 offset1:1
	s_and_saveexec_b64 s[2:3], vcc
	s_cbranch_execz .LBB0_15
; %bb.14:
	v_lshl_add_u32 v2, v20, 3, 0
	ds_write2_b32 v2, v44, v42 offset1:1
.LBB0_15:
	s_or_b64 exec, exec, s[2:3]
	v_lshlrev_b32_e32 v71, 2, v33
	v_sub_u32_e32 v3, v31, v71
	v_lshlrev_b32_e32 v72, 2, v22
	v_lshlrev_b32_e32 v73, 2, v24
	;; [unrolled: 1-line block ×5, first 2 shown]
	s_waitcnt lgkmcnt(0)
	; wave barrier
	s_waitcnt lgkmcnt(0)
	v_sub_u32_e32 v4, v35, v72
	v_sub_u32_e32 v5, v27, v73
	;; [unrolled: 1-line block ×5, first 2 shown]
	ds_read_b32 v53, v3
	ds_read_b32 v52, v4
	;; [unrolled: 1-line block ×6, first 2 shown]
	v_lshlrev_b32_e32 v19, 2, v32
	v_lshlrev_b32_e32 v11, 2, v18
	v_sub_u32_e32 v3, v66, v19
	v_lshlrev_b32_e32 v94, 2, v21
	v_sub_u32_e32 v2, v10, v11
	v_sub_u32_e32 v4, v70, v94
	ds_read_b32 v50, v3
	ds_read_b32 v45, v4
	;; [unrolled: 1-line block ×4, first 2 shown]
	ds_read2_b32 v[8:9], v0 offset0:34 offset1:86
	ds_read2_b32 v[6:7], v0 offset0:138 offset1:190
	v_add_u32_e32 v0, 0xa00, v23
	ds_read2_b32 v[4:5], v0 offset0:114 offset1:166
	ds_read2_b32 v[2:3], v1 offset0:90 offset1:142
	;; [unrolled: 1-line block ×3, first 2 shown]
	v_lshlrev_b32_e32 v58, 1, v30
	v_lshlrev_b32_e32 v57, 1, v32
	;; [unrolled: 1-line block ×3, first 2 shown]
	v_lshrrev_b32_e32 v43, 16, v42
	v_lshl_add_u32 v67, v20, 2, 0
	v_lshlrev_b32_e32 v41, 1, v18
	v_lshlrev_b32_e32 v40, 1, v33
	;; [unrolled: 1-line block ×6, first 2 shown]
	s_and_saveexec_b64 s[2:3], vcc
	s_cbranch_execz .LBB0_17
; %bb.16:
	ds_read_b32 v42, v23 offset:4264
	ds_read_b32 v44, v67
	s_waitcnt lgkmcnt(1)
	v_lshrrev_b32_e32 v43, 16, v42
.LBB0_17:
	s_or_b64 exec, exec, s[2:3]
	v_and_b32_e32 v51, 1, v14
	v_lshlrev_b32_e32 v59, 2, v51
	global_load_dword v59, v59, s[12:13]
	v_lshlrev_b32_e32 v34, 1, v14
	s_movk_i32 s2, 0x7c
	v_and_or_b32 v61, v34, s2, v51
	s_movk_i32 s2, 0xfc
	s_movk_i32 s3, 0x2fc
	v_and_or_b32 v62, v41, s2, v51
	s_movk_i32 s2, 0x1fc
	v_and_or_b32 v74, v36, s3, v51
	v_and_or_b32 v63, v40, s2, v51
	;; [unrolled: 1-line block ×3, first 2 shown]
	s_movk_i32 s2, 0x3fc
	v_lshl_add_u32 v75, v74, 2, 0
	v_and_or_b32 v65, v38, s2, v51
	v_and_or_b32 v58, v58, s2, v51
	;; [unrolled: 1-line block ×3, first 2 shown]
	s_movk_i32 s2, 0x7fc
	v_and_or_b32 v56, v56, s2, v51
	s_mov_b32 s2, 0xffff
	s_waitcnt lgkmcnt(0)
	v_lshrrev_b32_e32 v60, 16, v44
	v_lshl_add_u32 v61, v61, 2, 0
	s_waitcnt lgkmcnt(0)
	; wave barrier
	v_lshl_add_u32 v62, v62, 2, 0
	v_lshl_add_u32 v63, v63, 2, 0
	;; [unrolled: 1-line block ×4, first 2 shown]
	v_and_or_b32 v68, v37, s3, v51
	v_lshl_add_u32 v68, v68, 2, 0
	v_sub_u32_e32 v11, 0, v11
	v_lshl_add_u32 v58, v58, 2, 0
	v_lshl_add_u32 v57, v57, 2, 0
	;; [unrolled: 1-line block ×3, first 2 shown]
	s_waitcnt vmcnt(0)
	v_pk_mul_f16 v74, v59, v1 op_sel:[0,1]
	v_pk_fma_f16 v76, v59, v1, v74 op_sel:[0,0,1] op_sel_hi:[1,1,0]
	v_pk_fma_f16 v1, v59, v1, v74 op_sel:[0,0,1] op_sel_hi:[1,0,0] neg_lo:[1,0,0] neg_hi:[1,0,0]
	v_mul_f16_sdwa v74, v43, v59 dst_sel:DWORD dst_unused:UNUSED_PAD src0_sel:DWORD src1_sel:WORD_1
	v_fma_f16 v74, v42, v59, v74
	v_mul_f16_sdwa v42, v42, v59 dst_sel:DWORD dst_unused:UNUSED_PAD src0_sel:DWORD src1_sel:WORD_1
	v_bfi_b32 v1, s2, v76, v1
	v_fma_f16 v76, v43, v59, -v42
	v_pk_add_f16 v43, v45, v1 neg_lo:[0,1] neg_hi:[0,1]
	v_sub_f16_e32 v82, v60, v76
	v_pk_mul_f16 v1, v59, v8 op_sel:[0,1]
	v_fma_f16 v81, v60, 2.0, -v82
	v_pk_fma_f16 v60, v59, v8, v1 op_sel:[0,0,1] op_sel_hi:[1,1,0]
	v_pk_fma_f16 v1, v59, v8, v1 op_sel:[0,0,1] op_sel_hi:[1,0,0] neg_lo:[1,0,0] neg_hi:[1,0,0]
	v_bfi_b32 v1, s2, v60, v1
	v_pk_add_f16 v1, v55, v1 neg_lo:[0,1] neg_hi:[0,1]
	v_pk_fma_f16 v8, v55, 2.0, v1 op_sel_hi:[1,0,1] neg_lo:[0,0,1] neg_hi:[0,0,1]
	ds_write2_b32 v61, v8, v1 offset1:2
	v_pk_mul_f16 v1, v59, v9 op_sel:[0,1]
	v_pk_fma_f16 v8, v59, v9, v1 op_sel:[0,0,1] op_sel_hi:[1,1,0]
	v_pk_fma_f16 v1, v59, v9, v1 op_sel:[0,0,1] op_sel_hi:[1,0,0] neg_lo:[1,0,0] neg_hi:[1,0,0]
	v_bfi_b32 v1, s2, v8, v1
	v_pk_add_f16 v1, v54, v1 neg_lo:[0,1] neg_hi:[0,1]
	v_pk_fma_f16 v8, v54, 2.0, v1 op_sel_hi:[1,0,1] neg_lo:[0,0,1] neg_hi:[0,0,1]
	ds_write2_b32 v62, v8, v1 offset1:2
	v_pk_mul_f16 v1, v59, v6 op_sel:[0,1]
	;; [unrolled: 7-line block ×6, first 2 shown]
	v_pk_fma_f16 v4, v59, v2, v1 op_sel:[0,0,1] op_sel_hi:[1,1,0]
	v_pk_fma_f16 v1, v59, v2, v1 op_sel:[0,0,1] op_sel_hi:[1,0,0] neg_lo:[1,0,0] neg_hi:[1,0,0]
	v_bfi_b32 v1, s2, v4, v1
	v_pk_fma_f16 v42, v45, 2.0, v43 op_sel_hi:[1,0,1] neg_lo:[0,0,1] neg_hi:[0,0,1]
	v_sub_f16_e32 v45, v44, v74
	v_pk_add_f16 v74, v47, v1 neg_lo:[0,1] neg_hi:[0,1]
	v_pk_fma_f16 v1, v47, 2.0, v74 op_sel_hi:[1,0,1] neg_lo:[0,0,1] neg_hi:[0,0,1]
	ds_write2_b32 v75, v1, v74 offset1:2
	v_pk_mul_f16 v1, v59, v3 op_sel:[0,1]
	v_pk_fma_f16 v2, v59, v3, v1 op_sel:[0,0,1] op_sel_hi:[1,1,0]
	v_pk_fma_f16 v1, v59, v3, v1 op_sel:[0,0,1] op_sel_hi:[1,0,0] neg_lo:[1,0,0] neg_hi:[1,0,0]
	v_bfi_b32 v1, s2, v2, v1
	v_pk_add_f16 v49, v46, v1 neg_lo:[0,1] neg_hi:[0,1]
	v_pk_mul_f16 v1, v59, v0 op_sel:[0,1]
	v_pk_fma_f16 v2, v59, v0, v1 op_sel:[0,0,1] op_sel_hi:[1,1,0]
	v_pk_fma_f16 v0, v59, v0, v1 op_sel:[0,0,1] op_sel_hi:[1,0,0] neg_lo:[1,0,0] neg_hi:[1,0,0]
	v_bfi_b32 v0, s2, v2, v0
	v_pk_add_f16 v47, v50, v0 neg_lo:[0,1] neg_hi:[0,1]
	v_fma_f16 v44, v44, 2.0, -v45
	v_pk_fma_f16 v48, v46, 2.0, v49 op_sel_hi:[1,0,1] neg_lo:[0,0,1] neg_hi:[0,0,1]
	v_pk_fma_f16 v46, v50, 2.0, v47 op_sel_hi:[1,0,1] neg_lo:[0,0,1] neg_hi:[0,0,1]
	ds_write2_b32 v58, v48, v49 offset1:2
	ds_write2_b32 v57, v46, v47 offset1:2
	;; [unrolled: 1-line block ×3, first 2 shown]
	s_and_saveexec_b64 s[2:3], vcc
	s_cbranch_execz .LBB0_19
; %bb.18:
	v_lshlrev_b32_e32 v0, 1, v20
	s_movk_i32 s6, 0x47c
	v_and_or_b32 v0, v0, s6, v51
	s_mov_b32 s6, 0x5040100
	v_lshl_add_u32 v0, v0, 2, 0
	v_perm_b32 v1, v81, v44, s6
	v_perm_b32 v2, v82, v45, s6
	ds_write2_b32 v0, v1, v2 offset1:2
.LBB0_19:
	s_or_b64 exec, exec, s[2:3]
	v_add_u32_e32 v3, 0x400, v23
	v_add_u32_e32 v2, 0x600, v23
	;; [unrolled: 1-line block ×4, first 2 shown]
	s_waitcnt lgkmcnt(0)
	; wave barrier
	s_waitcnt lgkmcnt(0)
	ds_read2_b32 v[54:55], v23 offset1:84
	ds_read2_b32 v[56:57], v23 offset0:168 offset1:252
	ds_read2_b32 v[58:59], v3 offset0:80 offset1:164
	;; [unrolled: 1-line block ×5, first 2 shown]
	ds_read_b32 v95, v23 offset:4032
	v_cmp_gt_u32_e64 s[2:3], 32, v14
	v_lshrrev_b32_e32 v84, 16, v42
	v_lshrrev_b32_e32 v83, 16, v43
	;; [unrolled: 1-line block ×7, first 2 shown]
	v_add_u32_e32 v68, v10, v11
                                        ; implicit-def: $vgpr92
                                        ; implicit-def: $vgpr53
                                        ; implicit-def: $vgpr91
                                        ; implicit-def: $vgpr90
                                        ; implicit-def: $vgpr51
                                        ; implicit-def: $vgpr89
	s_and_saveexec_b64 s[6:7], s[2:3]
	s_cbranch_execz .LBB0_21
; %bb.20:
	ds_read_b32 v74, v68
	ds_read2_b32 v[48:49], v23 offset0:136 offset1:220
	ds_read2_b32 v[46:47], v3 offset0:48 offset1:132
	;; [unrolled: 1-line block ×4, first 2 shown]
	v_add_u32_e32 v0, 0xe00, v23
	ds_read2_b32 v[44:45], v1 offset0:128 offset1:212
	ds_read2_b32 v[52:53], v0 offset0:80 offset1:164
	s_waitcnt lgkmcnt(6)
	v_lshrrev_b32_e32 v76, 16, v74
	s_waitcnt lgkmcnt(5)
	v_lshrrev_b32_e32 v88, 16, v48
	v_lshrrev_b32_e32 v87, 16, v49
	s_waitcnt lgkmcnt(4)
	v_lshrrev_b32_e32 v86, 16, v46
	;; [unrolled: 3-line block ×4, first 2 shown]
	v_lshrrev_b32_e32 v82, 16, v45
	v_lshrrev_b32_e32 v89, 16, v50
	;; [unrolled: 1-line block ×3, first 2 shown]
	s_waitcnt lgkmcnt(0)
	v_lshrrev_b32_e32 v91, 16, v52
	v_lshrrev_b32_e32 v92, 16, v53
.LBB0_21:
	s_or_b64 exec, exec, s[6:7]
	v_and_b32_e32 v80, 3, v14
	v_mul_u32_u24_e32 v0, 12, v80
	v_lshlrev_b32_e32 v75, 2, v0
	global_load_dwordx4 v[4:7], v75, s[12:13] offset:8
	global_load_dwordx4 v[0:3], v75, s[12:13] offset:24
	;; [unrolled: 1-line block ×3, first 2 shown]
	s_waitcnt lgkmcnt(6)
	v_lshrrev_b32_e32 v98, 16, v55
	s_waitcnt lgkmcnt(5)
	v_lshrrev_b32_e32 v99, 16, v56
	v_lshrrev_b32_e32 v100, 16, v57
	s_waitcnt lgkmcnt(4)
	v_lshrrev_b32_e32 v101, 16, v58
	;; [unrolled: 3-line block ×4, first 2 shown]
	v_sub_u32_e32 v77, 0, v72
	v_sub_u32_e32 v72, 0, v73
	;; [unrolled: 1-line block ×3, first 2 shown]
	v_lshrrev_b32_e32 v93, 16, v63
	v_sub_u32_e32 v75, 0, v71
	v_sub_u32_e32 v71, 0, v78
	;; [unrolled: 1-line block ×4, first 2 shown]
	s_waitcnt lgkmcnt(1)
	v_lshrrev_b32_e32 v94, 16, v64
	v_lshrrev_b32_e32 v96, 16, v65
	s_waitcnt lgkmcnt(0)
	v_lshrrev_b32_e32 v97, 16, v95
	s_mov_b32 s9, 0xb770
	s_movk_i32 s8, 0x3b15
	s_movk_i32 s17, 0x3770
	s_mov_b32 s15, 0xba95
	s_movk_i32 s14, 0x388b
	s_movk_i32 s27, 0x3a95
	;; [unrolled: 3-line block ×3, first 2 shown]
	s_mov_b32 s20, 0xbb7b
	s_mov_b32 s19, 0xb5ac
	s_movk_i32 s28, 0x3b7b
	s_mov_b32 s23, 0xb94e
	s_mov_b32 s21, 0xb9fd
	s_movk_i32 s26, 0x394e
	;; [unrolled: 3-line block ×3, first 2 shown]
	s_waitcnt lgkmcnt(0)
	; wave barrier
	s_waitcnt vmcnt(2)
	v_mul_f16_sdwa v106, v4, v98 dst_sel:DWORD dst_unused:UNUSED_PAD src0_sel:WORD_1 src1_sel:DWORD
	v_mul_f16_sdwa v107, v4, v55 dst_sel:DWORD dst_unused:UNUSED_PAD src0_sel:WORD_1 src1_sel:DWORD
	;; [unrolled: 1-line block ×3, first 2 shown]
	v_fma_f16 v55, v4, v55, v106
	v_mul_f16_sdwa v109, v5, v56 dst_sel:DWORD dst_unused:UNUSED_PAD src0_sel:WORD_1 src1_sel:DWORD
	v_mul_f16_sdwa v110, v6, v100 dst_sel:DWORD dst_unused:UNUSED_PAD src0_sel:WORD_1 src1_sel:DWORD
	v_fma_f16 v98, v4, v98, -v107
	v_fma_f16 v56, v5, v56, v108
	v_add_f16_e32 v106, v55, v54
	v_mul_f16_sdwa v111, v6, v57 dst_sel:DWORD dst_unused:UNUSED_PAD src0_sel:WORD_1 src1_sel:DWORD
	v_mul_f16_sdwa v112, v7, v101 dst_sel:DWORD dst_unused:UNUSED_PAD src0_sel:WORD_1 src1_sel:DWORD
	v_fma_f16 v99, v5, v99, -v109
	v_fma_f16 v57, v6, v57, v110
	v_add_f16_sdwa v107, v98, v54 dst_sel:DWORD dst_unused:UNUSED_PAD src0_sel:DWORD src1_sel:WORD_1
	v_add_f16_e32 v106, v106, v56
	v_mul_f16_sdwa v113, v7, v58 dst_sel:DWORD dst_unused:UNUSED_PAD src0_sel:WORD_1 src1_sel:DWORD
	s_waitcnt vmcnt(1)
	v_mul_f16_sdwa v114, v0, v102 dst_sel:DWORD dst_unused:UNUSED_PAD src0_sel:WORD_1 src1_sel:DWORD
	v_fma_f16 v100, v6, v100, -v111
	v_fma_f16 v58, v7, v58, v112
	v_add_f16_e32 v107, v107, v99
	v_add_f16_e32 v106, v106, v57
	v_mul_f16_sdwa v115, v0, v59 dst_sel:DWORD dst_unused:UNUSED_PAD src0_sel:WORD_1 src1_sel:DWORD
	v_mul_f16_sdwa v116, v1, v103 dst_sel:DWORD dst_unused:UNUSED_PAD src0_sel:WORD_1 src1_sel:DWORD
	v_fma_f16 v101, v7, v101, -v113
	v_fma_f16 v59, v0, v59, v114
	v_add_f16_e32 v107, v107, v100
	v_add_f16_e32 v106, v106, v58
	v_mul_f16_sdwa v117, v1, v60 dst_sel:DWORD dst_unused:UNUSED_PAD src0_sel:WORD_1 src1_sel:DWORD
	;; [unrolled: 6-line block ×4, first 2 shown]
	s_waitcnt vmcnt(0)
	v_mul_f16_sdwa v122, v93, v8 dst_sel:DWORD dst_unused:UNUSED_PAD src0_sel:DWORD src1_sel:WORD_1
	v_fma_f16 v104, v2, v104, -v119
	v_fma_f16 v62, v3, v62, v120
	v_add_f16_e32 v107, v107, v103
	v_add_f16_e32 v106, v106, v61
	v_mul_f16_sdwa v123, v63, v8 dst_sel:DWORD dst_unused:UNUSED_PAD src0_sel:DWORD src1_sel:WORD_1
	v_mul_f16_sdwa v124, v94, v9 dst_sel:DWORD dst_unused:UNUSED_PAD src0_sel:DWORD src1_sel:WORD_1
	v_fma_f16 v105, v3, v105, -v121
	v_fma_f16 v63, v63, v8, v122
	v_add_f16_e32 v107, v107, v104
	v_add_f16_e32 v106, v106, v62
	v_mul_f16_sdwa v125, v64, v9 dst_sel:DWORD dst_unused:UNUSED_PAD src0_sel:DWORD src1_sel:WORD_1
	;; [unrolled: 6-line block ×3, first 2 shown]
	v_mul_f16_sdwa v128, v97, v11 dst_sel:DWORD dst_unused:UNUSED_PAD src0_sel:DWORD src1_sel:WORD_1
	v_mul_f16_sdwa v129, v95, v11 dst_sel:DWORD dst_unused:UNUSED_PAD src0_sel:DWORD src1_sel:WORD_1
	v_fma_f16 v94, v94, v9, -v125
	v_fma_f16 v65, v65, v10, v126
	v_add_f16_e32 v107, v107, v93
	v_add_f16_e32 v106, v106, v64
	v_fma_f16 v96, v96, v10, -v127
	v_fma_f16 v95, v95, v11, v128
	v_fma_f16 v97, v97, v11, -v129
	v_add_f16_e32 v107, v107, v94
	v_add_f16_e32 v106, v106, v65
	;; [unrolled: 1-line block ×6, first 2 shown]
	v_sub_f16_e32 v55, v55, v95
	v_sub_f16_e32 v95, v98, v97
	v_add_f16_e32 v107, v107, v97
	v_mul_f16_e32 v97, 0xb770, v95
	v_mul_f16_e32 v110, 0x3b15, v109
	;; [unrolled: 1-line block ×12, first 2 shown]
	v_fma_f16 v98, v108, s8, v97
	v_fma_f16 v111, v55, s17, v110
	v_fma_f16 v97, v108, s8, -v97
	v_fma_f16 v110, v55, s9, v110
	v_fma_f16 v113, v108, s14, v112
	v_fma_f16 v115, v55, s27, v114
	v_fma_f16 v112, v108, s14, -v112
	v_fma_f16 v114, v55, s15, v114
	;; [unrolled: 4-line block ×6, first 2 shown]
	v_add_f16_e32 v98, v98, v54
	v_add_f16_sdwa v111, v111, v54 dst_sel:DWORD dst_unused:UNUSED_PAD src0_sel:DWORD src1_sel:WORD_1
	v_add_f16_e32 v97, v97, v54
	v_add_f16_sdwa v110, v110, v54 dst_sel:DWORD dst_unused:UNUSED_PAD src0_sel:DWORD src1_sel:WORD_1
	v_add_f16_e32 v113, v113, v54
	v_add_f16_sdwa v115, v115, v54 dst_sel:DWORD dst_unused:UNUSED_PAD src0_sel:DWORD src1_sel:WORD_1
	v_add_f16_e32 v112, v112, v54
	v_add_f16_sdwa v114, v114, v54 dst_sel:DWORD dst_unused:UNUSED_PAD src0_sel:DWORD src1_sel:WORD_1
	v_add_f16_e32 v117, v117, v54
	v_add_f16_sdwa v119, v119, v54 dst_sel:DWORD dst_unused:UNUSED_PAD src0_sel:DWORD src1_sel:WORD_1
	v_add_f16_e32 v116, v116, v54
	v_add_f16_sdwa v118, v118, v54 dst_sel:DWORD dst_unused:UNUSED_PAD src0_sel:DWORD src1_sel:WORD_1
	v_add_f16_e32 v121, v121, v54
	v_add_f16_sdwa v123, v123, v54 dst_sel:DWORD dst_unused:UNUSED_PAD src0_sel:DWORD src1_sel:WORD_1
	v_add_f16_e32 v120, v120, v54
	v_add_f16_sdwa v122, v122, v54 dst_sel:DWORD dst_unused:UNUSED_PAD src0_sel:DWORD src1_sel:WORD_1
	v_add_f16_e32 v125, v125, v54
	v_add_f16_sdwa v127, v127, v54 dst_sel:DWORD dst_unused:UNUSED_PAD src0_sel:DWORD src1_sel:WORD_1
	v_add_f16_e32 v124, v124, v54
	v_add_f16_sdwa v126, v126, v54 dst_sel:DWORD dst_unused:UNUSED_PAD src0_sel:DWORD src1_sel:WORD_1
	v_add_f16_e32 v128, v128, v54
	v_add_f16_sdwa v129, v129, v54 dst_sel:DWORD dst_unused:UNUSED_PAD src0_sel:DWORD src1_sel:WORD_1
	v_add_f16_e32 v95, v95, v54
	v_add_f16_sdwa v54, v55, v54 dst_sel:DWORD dst_unused:UNUSED_PAD src0_sel:DWORD src1_sel:WORD_1
	v_add_f16_e32 v55, v56, v65
	v_sub_f16_e32 v56, v56, v65
	v_sub_f16_e32 v65, v99, v96
	v_add_f16_e32 v108, v99, v96
	v_mul_f16_e32 v96, 0xba95, v65
	v_fma_f16 v99, v55, s14, v96
	v_add_f16_e32 v98, v99, v98
	v_mul_f16_e32 v99, 0x388b, v108
	v_fma_f16 v96, v55, s14, -v96
	v_fma_f16 v109, v56, s27, v99
	v_add_f16_e32 v96, v96, v97
	v_fma_f16 v97, v56, s15, v99
	v_mul_f16_e32 v99, 0xbb7b, v65
	v_add_f16_e32 v109, v109, v111
	v_add_f16_e32 v97, v97, v110
	v_fma_f16 v110, v55, s19, v99
	v_mul_f16_e32 v111, 0xb5ac, v108
	v_fma_f16 v99, v55, s19, -v99
	v_add_f16_e32 v110, v110, v113
	v_fma_f16 v113, v56, s28, v111
	v_add_f16_e32 v99, v99, v112
	v_fma_f16 v111, v56, s20, v111
	v_mul_f16_e32 v112, 0xb3a8, v65
	v_add_f16_e32 v113, v113, v115
	v_add_f16_e32 v111, v111, v114
	v_fma_f16 v114, v55, s22, v112
	v_mul_f16_e32 v115, 0xbbc4, v108
	v_fma_f16 v112, v55, s22, -v112
	v_add_f16_e32 v114, v114, v117
	;; [unrolled: 10-line block ×3, first 2 shown]
	v_fma_f16 v121, v56, s23, v119
	v_add_f16_e32 v116, v116, v120
	v_fma_f16 v119, v56, s26, v119
	v_mul_f16_e32 v120, 0x3bf1, v65
	v_add_f16_e32 v121, v121, v123
	v_add_f16_e32 v119, v119, v122
	v_fma_f16 v122, v55, s16, v120
	v_mul_f16_e32 v123, 0x2fb7, v108
	v_add_f16_e32 v122, v122, v125
	v_fma_f16 v125, v56, s18, v123
	v_fma_f16 v123, v56, s24, v123
	v_mul_f16_e32 v108, 0x3b15, v108
	v_add_f16_e32 v123, v123, v126
	v_fma_f16 v126, v56, s9, v108
	v_fma_f16 v56, v56, s17, v108
	v_fma_f16 v120, v55, s16, -v120
	v_mul_f16_e32 v65, 0x3770, v65
	v_add_f16_e32 v54, v56, v54
	v_add_f16_e32 v56, v57, v64
	v_sub_f16_e32 v57, v57, v64
	v_sub_f16_e32 v64, v100, v94
	v_add_f16_e32 v120, v120, v124
	v_fma_f16 v124, v55, s8, v65
	v_fma_f16 v55, v55, s8, -v65
	v_add_f16_e32 v65, v100, v94
	v_mul_f16_e32 v94, 0xbbf1, v64
	v_add_f16_e32 v55, v55, v95
	v_fma_f16 v95, v56, s16, v94
	v_add_f16_e32 v95, v95, v98
	v_mul_f16_e32 v98, 0x2fb7, v65
	v_fma_f16 v94, v56, s16, -v94
	v_add_f16_e32 v94, v94, v96
	v_fma_f16 v96, v57, s18, v98
	v_add_f16_e32 v96, v96, v97
	v_mul_f16_e32 v97, 0xb3a8, v64
	v_fma_f16 v100, v57, s24, v98
	v_fma_f16 v98, v56, s22, v97
	v_mul_f16_e32 v108, 0xbbc4, v65
	v_fma_f16 v97, v56, s22, -v97
	v_add_f16_e32 v100, v100, v109
	v_fma_f16 v109, v57, s29, v108
	v_add_f16_e32 v97, v97, v99
	v_fma_f16 v99, v57, s25, v108
	v_mul_f16_e32 v108, 0x3b7b, v64
	v_add_f16_e32 v98, v98, v110
	v_fma_f16 v110, v56, s19, v108
	v_fma_f16 v108, v56, s19, -v108
	v_add_f16_e32 v99, v99, v111
	v_mul_f16_e32 v111, 0xb5ac, v65
	v_add_f16_e32 v108, v108, v112
	v_mul_f16_e32 v112, 0x3770, v64
	v_add_f16_e32 v109, v109, v113
	v_add_f16_e32 v110, v110, v114
	v_fma_f16 v113, v57, s20, v111
	v_fma_f16 v111, v57, s28, v111
	;; [unrolled: 1-line block ×3, first 2 shown]
	v_fma_f16 v112, v56, s8, -v112
	v_add_f16_e32 v111, v111, v115
	v_mul_f16_e32 v115, 0x3b15, v65
	v_add_f16_e32 v112, v112, v116
	v_mul_f16_e32 v116, 0xba95, v64
	v_add_f16_e32 v113, v113, v117
	v_add_f16_e32 v114, v114, v118
	v_fma_f16 v117, v57, s9, v115
	v_fma_f16 v115, v57, s17, v115
	;; [unrolled: 1-line block ×3, first 2 shown]
	v_fma_f16 v116, v56, s14, -v116
	v_mul_f16_e32 v64, 0xb94e, v64
	v_add_f16_e32 v115, v115, v119
	v_mul_f16_e32 v119, 0x388b, v65
	v_add_f16_e32 v116, v116, v120
	v_fma_f16 v120, v56, s21, v64
	v_mul_f16_e32 v65, 0xb9fd, v65
	v_fma_f16 v56, v56, s21, -v64
	v_add_f16_e32 v55, v56, v55
	v_fma_f16 v56, v57, s23, v65
	v_add_f16_e32 v54, v56, v54
	v_add_f16_e32 v56, v58, v63
	v_sub_f16_e32 v58, v58, v63
	v_sub_f16_e32 v63, v101, v93
	v_add_f16_e32 v117, v117, v121
	v_add_f16_e32 v118, v118, v122
	v_fma_f16 v121, v57, s27, v119
	v_fma_f16 v119, v57, s15, v119
	v_fma_f16 v122, v57, s26, v65
	v_add_f16_e32 v57, v101, v93
	v_mul_f16_e32 v64, 0xbb7b, v63
	v_fma_f16 v65, v56, s19, v64
	v_mul_f16_e32 v93, 0xb5ac, v57
	v_fma_f16 v64, v56, s19, -v64
	v_add_f16_e32 v65, v65, v95
	v_fma_f16 v95, v58, s28, v93
	v_add_f16_e32 v64, v64, v94
	v_fma_f16 v93, v58, s20, v93
	v_mul_f16_e32 v94, 0x394e, v63
	v_add_f16_e32 v93, v93, v96
	v_fma_f16 v96, v56, s21, v94
	v_add_f16_e32 v96, v96, v98
	v_mul_f16_e32 v98, 0xb9fd, v57
	v_fma_f16 v94, v56, s21, -v94
	v_add_f16_e32 v95, v95, v100
	v_fma_f16 v100, v58, s23, v98
	v_add_f16_e32 v94, v94, v97
	v_fma_f16 v97, v58, s26, v98
	v_mul_f16_e32 v98, 0x3770, v63
	v_add_f16_e32 v97, v97, v99
	v_fma_f16 v99, v56, s8, v98
	v_fma_f16 v98, v56, s8, -v98
	v_mul_f16_e32 v101, 0x3b15, v57
	v_add_f16_e32 v98, v98, v108
	v_mul_f16_e32 v108, 0xbbf1, v63
	v_add_f16_e32 v100, v100, v109
	v_add_f16_e32 v99, v99, v110
	v_fma_f16 v109, v58, s9, v101
	v_fma_f16 v101, v58, s17, v101
	;; [unrolled: 1-line block ×3, first 2 shown]
	v_fma_f16 v108, v56, s16, -v108
	v_add_f16_e32 v101, v101, v111
	v_mul_f16_e32 v111, 0x2fb7, v57
	v_add_f16_e32 v108, v108, v112
	v_mul_f16_e32 v112, 0x33a8, v63
	v_add_f16_e32 v109, v109, v113
	v_add_f16_e32 v110, v110, v114
	v_fma_f16 v113, v58, s24, v111
	v_fma_f16 v111, v58, s18, v111
	;; [unrolled: 1-line block ×3, first 2 shown]
	v_fma_f16 v112, v56, s22, -v112
	v_mul_f16_e32 v63, 0x3a95, v63
	v_add_f16_e32 v111, v111, v115
	v_mul_f16_e32 v115, 0xbbc4, v57
	v_add_f16_e32 v112, v112, v116
	v_fma_f16 v116, v56, s14, v63
	v_mul_f16_e32 v57, 0x388b, v57
	v_fma_f16 v56, v56, s14, -v63
	v_add_f16_e32 v55, v56, v55
	v_fma_f16 v56, v58, s27, v57
	v_add_f16_e32 v113, v113, v117
	v_add_f16_e32 v114, v114, v118
	v_fma_f16 v117, v58, s25, v115
	v_fma_f16 v115, v58, s29, v115
	;; [unrolled: 1-line block ×3, first 2 shown]
	v_add_f16_e32 v54, v56, v54
	v_add_f16_e32 v56, v59, v62
	v_sub_f16_e32 v58, v59, v62
	v_sub_f16_e32 v59, v102, v105
	v_mul_f16_e32 v62, 0xb94e, v59
	v_add_f16_e32 v57, v102, v105
	v_fma_f16 v63, v56, s21, v62
	v_add_f16_e32 v63, v63, v65
	v_mul_f16_e32 v65, 0xb9fd, v57
	v_fma_f16 v62, v56, s21, -v62
	v_fma_f16 v102, v58, s26, v65
	v_add_f16_e32 v62, v62, v64
	v_fma_f16 v64, v58, s23, v65
	v_mul_f16_e32 v65, 0x3bf1, v59
	v_add_f16_e32 v64, v64, v93
	v_fma_f16 v93, v56, s16, v65
	v_add_f16_e32 v93, v93, v96
	v_mul_f16_e32 v96, 0x2fb7, v57
	v_fma_f16 v65, v56, s16, -v65
	v_add_f16_e32 v95, v102, v95
	v_fma_f16 v102, v58, s18, v96
	v_add_f16_e32 v65, v65, v94
	v_fma_f16 v94, v58, s24, v96
	v_mul_f16_e32 v96, 0xba95, v59
	v_add_f16_e32 v94, v94, v97
	v_fma_f16 v97, v56, s14, v96
	v_add_f16_e32 v97, v97, v99
	v_mul_f16_e32 v99, 0x388b, v57
	v_fma_f16 v96, v56, s14, -v96
	v_add_f16_e32 v100, v102, v100
	v_fma_f16 v102, v58, s27, v99
	v_add_f16_e32 v96, v96, v98
	v_fma_f16 v98, v58, s15, v99
	v_mul_f16_e32 v99, 0x33a8, v59
	v_add_f16_e32 v98, v98, v101
	v_fma_f16 v101, v56, s22, v99
	v_fma_f16 v99, v56, s22, -v99
	v_mul_f16_e32 v105, 0xbbc4, v57
	v_add_f16_e32 v99, v99, v108
	v_mul_f16_e32 v108, 0x3770, v59
	v_add_f16_e32 v102, v102, v109
	v_add_f16_e32 v101, v101, v110
	v_fma_f16 v109, v58, s25, v105
	v_fma_f16 v105, v58, s29, v105
	;; [unrolled: 1-line block ×3, first 2 shown]
	v_fma_f16 v108, v56, s8, -v108
	v_mul_f16_e32 v59, 0xbb7b, v59
	v_add_f16_e32 v105, v105, v111
	v_mul_f16_e32 v111, 0x3b15, v57
	v_add_f16_e32 v108, v108, v112
	v_fma_f16 v112, v56, s19, v59
	v_mul_f16_e32 v57, 0xb5ac, v57
	v_fma_f16 v56, v56, s19, -v59
	v_add_f16_e32 v55, v56, v55
	v_fma_f16 v56, v58, s20, v57
	v_sub_f16_e32 v59, v103, v104
	v_add_f16_e32 v109, v109, v113
	v_add_f16_e32 v110, v110, v114
	v_fma_f16 v113, v58, s9, v111
	v_fma_f16 v111, v58, s17, v111
	;; [unrolled: 1-line block ×3, first 2 shown]
	v_add_f16_e32 v54, v56, v54
	v_add_f16_e32 v56, v60, v61
	v_sub_f16_e32 v58, v60, v61
	v_mul_f16_e32 v60, 0xb3a8, v59
	v_add_f16_e32 v57, v103, v104
	v_fma_f16 v61, v56, s22, v60
	v_add_f16_e32 v61, v61, v63
	v_mul_f16_e32 v63, 0xbbc4, v57
	v_fma_f16 v60, v56, s22, -v60
	v_fma_f16 v103, v58, s29, v63
	v_add_f16_e32 v60, v60, v62
	v_fma_f16 v62, v58, s25, v63
	v_mul_f16_e32 v63, 0x3770, v59
	v_add_f16_e32 v62, v62, v64
	v_fma_f16 v64, v56, s8, v63
	v_add_f16_e32 v64, v64, v93
	v_mul_f16_e32 v93, 0x3b15, v57
	v_fma_f16 v63, v56, s8, -v63
	v_add_f16_e32 v95, v103, v95
	v_fma_f16 v103, v58, s9, v93
	v_add_f16_e32 v63, v63, v65
	v_fma_f16 v65, v58, s17, v93
	v_mul_f16_e32 v93, 0xb94e, v59
	v_add_f16_e32 v65, v65, v94
	v_fma_f16 v94, v56, s21, v93
	v_add_f16_e32 v94, v94, v97
	v_mul_f16_e32 v97, 0xb9fd, v57
	v_fma_f16 v93, v56, s21, -v93
	v_add_f16_e32 v100, v103, v100
	;; [unrolled: 10-line block ×3, first 2 shown]
	v_fma_f16 v103, v58, s15, v101
	v_add_f16_e32 v97, v97, v99
	v_fma_f16 v99, v58, s27, v101
	v_mul_f16_e32 v101, 0xbb7b, v59
	v_fma_f16 v104, v56, s19, v101
	v_fma_f16 v101, v56, s19, -v101
	v_mul_f16_e32 v59, 0x3bf1, v59
	v_add_f16_e32 v99, v99, v105
	v_mul_f16_e32 v105, 0xb5ac, v57
	v_add_f16_e32 v101, v101, v108
	v_fma_f16 v108, v56, s16, v59
	v_mul_f16_e32 v57, 0x2fb7, v57
	v_fma_f16 v56, v56, s16, -v59
	v_add_f16_e32 v55, v56, v55
	v_fma_f16 v56, v58, s24, v57
	v_add_f16_e32 v125, v125, v127
	v_add_f16_e32 v54, v56, v54
	v_lshrrev_b32_e32 v56, 2, v14
	v_add_f16_e32 v124, v124, v128
	v_add_f16_e32 v126, v126, v129
	;; [unrolled: 1-line block ×3, first 2 shown]
	v_mul_u32_u24_e32 v56, 52, v56
	v_add_f16_e32 v120, v120, v124
	v_add_f16_e32 v122, v122, v126
	;; [unrolled: 1-line block ×3, first 2 shown]
	v_or_b32_e32 v56, v56, v80
	v_add_f16_e32 v119, v119, v123
	v_add_f16_e32 v116, v116, v120
	;; [unrolled: 1-line block ×6, first 2 shown]
	v_fma_f16 v109, v58, s28, v105
	v_fma_f16 v105, v58, s20, v105
	;; [unrolled: 1-line block ×3, first 2 shown]
	v_lshl_add_u32 v56, v56, 2, 0
	v_pack_b32_f16 v57, v106, v107
	v_pack_b32_f16 v58, v61, v95
	v_add_f16_e32 v115, v115, v119
	v_add_f16_e32 v112, v112, v116
	;; [unrolled: 1-line block ×4, first 2 shown]
	ds_write2_b32 v56, v57, v58 offset1:4
	v_pack_b32_f16 v57, v64, v100
	v_pack_b32_f16 v58, v94, v102
	v_add_f16_e32 v111, v111, v115
	v_add_f16_e32 v108, v108, v112
	v_add_f16_e32 v110, v110, v114
	ds_write2_b32 v56, v57, v58 offset0:8 offset1:12
	v_pack_b32_f16 v57, v98, v103
	v_pack_b32_f16 v58, v104, v109
	v_add_f16_e32 v105, v105, v111
	ds_write2_b32 v56, v57, v58 offset0:16 offset1:20
	v_pack_b32_f16 v57, v108, v110
	v_pack_b32_f16 v54, v55, v54
	ds_write2_b32 v56, v57, v54 offset0:24 offset1:28
	v_pack_b32_f16 v54, v101, v105
	v_pack_b32_f16 v55, v97, v99
	;; [unrolled: 3-line block ×3, first 2 shown]
	ds_write2_b32 v56, v54, v55 offset0:40 offset1:44
	v_pack_b32_f16 v54, v60, v62
	ds_write_b32 v56, v54 offset:192
	s_and_saveexec_b64 s[6:7], s[2:3]
	s_cbranch_execz .LBB0_23
; %bb.22:
	v_mul_f16_sdwa v54, v88, v4 dst_sel:DWORD dst_unused:UNUSED_PAD src0_sel:DWORD src1_sel:WORD_1
	v_mul_f16_sdwa v55, v92, v11 dst_sel:DWORD dst_unused:UNUSED_PAD src0_sel:DWORD src1_sel:WORD_1
	v_fma_f16 v54, v48, v4, v54
	v_fma_f16 v55, v53, v11, v55
	v_mul_f16_sdwa v53, v53, v11 dst_sel:DWORD dst_unused:UNUSED_PAD src0_sel:DWORD src1_sel:WORD_1
	v_mul_f16_sdwa v48, v48, v4 dst_sel:DWORD dst_unused:UNUSED_PAD src0_sel:DWORD src1_sel:WORD_1
	;; [unrolled: 1-line block ×4, first 2 shown]
	v_sub_f16_e32 v56, v54, v55
	v_fma_f16 v11, v92, v11, -v53
	v_fma_f16 v4, v88, v4, -v48
	v_fma_f16 v58, v49, v5, v58
	v_fma_f16 v59, v52, v10, v59
	v_mul_f16_sdwa v52, v52, v10 dst_sel:DWORD dst_unused:UNUSED_PAD src0_sel:DWORD src1_sel:WORD_1
	v_mul_f16_sdwa v49, v49, v5 dst_sel:DWORD dst_unused:UNUSED_PAD src0_sel:DWORD src1_sel:WORD_1
	v_mul_f16_e32 v57, 0xb94e, v56
	v_add_f16_e32 v48, v4, v11
	v_sub_f16_e32 v60, v58, v59
	v_fma_f16 v10, v91, v10, -v52
	v_fma_f16 v5, v87, v5, -v49
	v_fma_f16 v53, v48, s21, v57
	v_mul_f16_e32 v61, 0x3bf1, v60
	v_add_f16_e32 v49, v5, v10
	v_add_f16_e32 v53, v76, v53
	v_fma_f16 v52, v49, s16, v61
	v_add_f16_e32 v52, v52, v53
	v_mul_f16_sdwa v53, v86, v6 dst_sel:DWORD dst_unused:UNUSED_PAD src0_sel:DWORD src1_sel:WORD_1
	v_mul_f16_sdwa v62, v90, v9 dst_sel:DWORD dst_unused:UNUSED_PAD src0_sel:DWORD src1_sel:WORD_1
	v_fma_f16 v53, v46, v6, v53
	v_fma_f16 v62, v51, v9, v62
	v_mul_f16_sdwa v51, v51, v9 dst_sel:DWORD dst_unused:UNUSED_PAD src0_sel:DWORD src1_sel:WORD_1
	v_mul_f16_sdwa v46, v46, v6 dst_sel:DWORD dst_unused:UNUSED_PAD src0_sel:DWORD src1_sel:WORD_1
	v_sub_f16_e32 v63, v53, v62
	v_fma_f16 v9, v90, v9, -v51
	v_fma_f16 v6, v86, v6, -v46
	v_mul_f16_e32 v64, 0xba95, v63
	v_add_f16_e32 v46, v6, v9
	v_fma_f16 v51, v46, s14, v64
	v_add_f16_e32 v51, v51, v52
	v_mul_f16_sdwa v52, v85, v7 dst_sel:DWORD dst_unused:UNUSED_PAD src0_sel:DWORD src1_sel:WORD_1
	v_mul_f16_sdwa v65, v89, v8 dst_sel:DWORD dst_unused:UNUSED_PAD src0_sel:DWORD src1_sel:WORD_1
	v_fma_f16 v52, v47, v7, v52
	v_fma_f16 v65, v50, v8, v65
	v_mul_f16_sdwa v50, v50, v8 dst_sel:DWORD dst_unused:UNUSED_PAD src0_sel:DWORD src1_sel:WORD_1
	v_mul_f16_sdwa v47, v47, v7 dst_sel:DWORD dst_unused:UNUSED_PAD src0_sel:DWORD src1_sel:WORD_1
	v_sub_f16_e32 v86, v52, v65
	v_fma_f16 v8, v89, v8, -v50
	v_fma_f16 v7, v85, v7, -v47
	v_mul_f16_e32 v87, 0x33a8, v86
	;; [unrolled: 13-line block ×4, first 2 shown]
	v_add_f16_e32 v43, v1, v2
	v_fma_f16 v44, v43, s19, v90
	v_sub_f16_e32 v81, v4, v11
	v_add_f16_e32 v44, v44, v45
	v_add_f16_e32 v45, v54, v55
	v_mul_f16_e32 v83, 0xb94e, v81
	v_sub_f16_e32 v93, v5, v10
	v_fma_f16 v91, v45, s21, -v83
	v_add_f16_e32 v92, v58, v59
	v_mul_f16_e32 v94, 0x3bf1, v93
	v_add_f16_e32 v91, v74, v91
	v_fma_f16 v95, v92, s16, -v94
	v_sub_f16_e32 v96, v6, v9
	v_add_f16_e32 v91, v95, v91
	v_add_f16_e32 v95, v53, v62
	v_mul_f16_e32 v97, 0xba95, v96
	v_fma_f16 v98, v95, s14, -v97
	v_sub_f16_e32 v99, v7, v8
	v_add_f16_e32 v91, v98, v91
	v_add_f16_e32 v98, v52, v65
	v_mul_f16_e32 v100, 0x33a8, v99
	;; [unrolled: 5-line block ×3, first 2 shown]
	v_fma_f16 v104, v101, s8, -v103
	v_sub_f16_e32 v105, v1, v2
	v_fma_f16 v57, v48, s21, -v57
	v_add_f16_e32 v91, v104, v91
	v_add_f16_e32 v104, v50, v82
	v_mul_f16_e32 v106, 0xbb7b, v105
	v_add_f16_e32 v57, v76, v57
	v_fma_f16 v61, v49, s16, -v61
	v_fma_f16 v107, v104, s19, -v106
	v_add_f16_e32 v57, v61, v57
	v_fma_f16 v61, v46, s14, -v64
	v_add_f16_e32 v91, v107, v91
	v_mul_f16_e32 v107, 0xb3a8, v56
	v_add_f16_e32 v57, v61, v57
	v_fma_f16 v61, v47, s22, -v87
	v_fma_f16 v108, v48, s22, v107
	v_mul_f16_e32 v109, 0x3770, v60
	v_add_f16_e32 v57, v61, v57
	v_fma_f16 v61, v42, s8, -v89
	v_add_f16_e32 v108, v76, v108
	v_fma_f16 v110, v49, s8, v109
	v_add_f16_e32 v57, v61, v57
	v_fma_f16 v61, v43, s19, -v90
	v_add_f16_e32 v108, v110, v108
	v_mul_f16_e32 v110, 0xb94e, v63
	v_add_f16_e32 v57, v61, v57
	v_fma_f16 v61, v45, s21, v83
	v_fma_f16 v111, v46, s21, v110
	v_add_f16_e32 v61, v74, v61
	v_fma_f16 v64, v92, s16, v94
	v_add_f16_e32 v108, v111, v108
	v_mul_f16_e32 v111, 0x3a95, v86
	v_add_f16_e32 v61, v64, v61
	v_fma_f16 v64, v95, s14, v97
	v_fma_f16 v112, v47, s14, v111
	v_add_f16_e32 v61, v64, v61
	v_fma_f16 v64, v98, s22, v100
	v_add_f16_e32 v108, v112, v108
	v_mul_f16_e32 v112, 0xbb7b, v88
	v_add_f16_e32 v61, v64, v61
	v_fma_f16 v64, v101, s8, v103
	v_fma_f16 v113, v42, s19, v112
	v_add_f16_e32 v61, v64, v61
	v_fma_f16 v64, v104, s19, v106
	v_add_f16_e32 v108, v113, v108
	v_mul_f16_e32 v113, 0x3bf1, v84
	v_add_f16_e32 v61, v64, v61
	v_mul_f16_e32 v64, 0xb5ac, v48
	v_fma_f16 v114, v43, s16, v113
	v_fma_f16 v107, v48, s22, -v107
	v_fma_f16 v83, v56, s28, v64
	v_mul_f16_e32 v87, 0xb9fd, v49
	v_add_f16_e32 v108, v114, v108
	v_mul_f16_e32 v114, 0xb3a8, v81
	v_add_f16_e32 v107, v76, v107
	v_fma_f16 v109, v49, s8, -v109
	v_add_f16_e32 v83, v76, v83
	v_fma_f16 v89, v60, s23, v87
	v_fma_f16 v115, v45, s22, -v114
	v_mul_f16_e32 v116, 0x3770, v93
	v_add_f16_e32 v107, v109, v107
	v_fma_f16 v109, v46, s21, -v110
	v_add_f16_e32 v83, v89, v83
	v_mul_f16_e32 v89, 0x3b15, v46
	v_add_f16_e32 v115, v74, v115
	v_fma_f16 v117, v92, s8, -v116
	v_add_f16_e32 v107, v109, v107
	v_fma_f16 v109, v47, s14, -v111
	v_fma_f16 v90, v63, s9, v89
	v_add_f16_e32 v115, v117, v115
	v_mul_f16_e32 v117, 0xb94e, v96
	v_add_f16_e32 v107, v109, v107
	v_fma_f16 v109, v42, s19, -v112
	v_add_f16_e32 v83, v90, v83
	v_mul_f16_e32 v90, 0x2fb7, v47
	v_fma_f16 v118, v95, s21, -v117
	v_add_f16_e32 v107, v109, v107
	v_fma_f16 v109, v43, s16, -v113
	v_fma_f16 v94, v86, s24, v90
	v_add_f16_e32 v115, v118, v115
	v_mul_f16_e32 v118, 0x3a95, v99
	v_add_f16_e32 v107, v109, v107
	v_fma_f16 v109, v45, s22, v114
	v_add_f16_e32 v83, v94, v83
	v_mul_f16_e32 v94, 0xbbc4, v42
	v_fma_f16 v119, v98, s14, -v118
	v_add_f16_e32 v109, v74, v109
	v_fma_f16 v110, v92, s8, v116
	v_fma_f16 v97, v88, s25, v94
	v_add_f16_e32 v115, v119, v115
	v_mul_f16_e32 v119, 0xbb7b, v102
	v_add_f16_e32 v109, v110, v109
	v_fma_f16 v110, v95, s21, v117
	v_add_f16_e32 v83, v97, v83
	v_mul_f16_e32 v97, 0x388b, v43
	v_fma_f16 v120, v101, s19, -v119
	v_add_f16_e32 v109, v110, v109
	v_fma_f16 v110, v98, s14, v118
	v_fma_f16 v100, v84, s15, v97
	v_add_f16_e32 v115, v120, v115
	v_mul_f16_e32 v120, 0x3bf1, v105
	v_add_f16_e32 v109, v110, v109
	v_fma_f16 v110, v101, s19, v119
	v_add_f16_e32 v83, v100, v83
	v_mul_f16_e32 v100, 0xbb7b, v81
	v_add_f16_e32 v109, v110, v109
	v_fma_f16 v110, v104, s16, v120
	v_fma_f16 v103, v45, s19, v100
	v_mul_f16_e32 v106, 0x394e, v93
	v_add_f16_e32 v109, v110, v109
	v_add_f16_e32 v103, v74, v103
	v_fma_f16 v110, v92, s21, v106
	v_add_f16_e32 v103, v110, v103
	v_mul_f16_e32 v110, 0x3770, v96
	v_fma_f16 v111, v95, s8, v110
	v_add_f16_e32 v103, v111, v103
	v_mul_f16_e32 v111, 0xbbf1, v99
	;; [unrolled: 3-line block ×5, first 2 shown]
	v_fma_f16 v116, v56, s24, v114
	v_mul_f16_e32 v117, 0xbbc4, v49
	v_add_f16_e32 v116, v76, v116
	v_fma_f16 v118, v60, s29, v117
	v_add_f16_e32 v116, v118, v116
	v_mul_f16_e32 v118, 0xb5ac, v46
	v_add_f16_e32 v4, v76, v4
	v_fma_f16 v119, v63, s20, v118
	v_add_f16_e32 v4, v4, v5
	v_add_f16_e32 v116, v119, v116
	v_mul_f16_e32 v119, 0x3b15, v47
	v_add_f16_e32 v4, v4, v6
	v_fma_f16 v121, v104, s16, -v120
	v_fma_f16 v120, v86, s9, v119
	v_add_f16_e32 v4, v4, v7
	v_add_f16_e32 v116, v120, v116
	v_mul_f16_e32 v120, 0x388b, v42
	v_add_f16_e32 v0, v4, v0
	v_add_f16_e32 v115, v121, v115
	v_fma_f16 v121, v88, s27, v120
	v_add_f16_e32 v0, v0, v1
	v_fma_f16 v1, v56, s20, v64
	v_add_f16_e32 v116, v121, v116
	v_mul_f16_e32 v121, 0xb9fd, v43
	v_add_f16_e32 v0, v0, v2
	v_add_f16_e32 v1, v76, v1
	v_fma_f16 v2, v60, s26, v87
	v_fma_f16 v122, v84, s26, v121
	v_add_f16_e32 v1, v2, v1
	v_fma_f16 v2, v63, s17, v89
	v_add_f16_e32 v116, v122, v116
	v_mul_f16_e32 v122, 0xbbf1, v81
	v_add_f16_e32 v1, v2, v1
	v_fma_f16 v2, v86, s18, v90
	v_fma_f16 v123, v45, s16, v122
	v_mul_f16_e32 v124, 0xb3a8, v93
	v_add_f16_e32 v1, v2, v1
	v_fma_f16 v2, v88, s29, v94
	v_add_f16_e32 v123, v74, v123
	v_fma_f16 v125, v92, s22, v124
	;; [unrolled: 2-line block ×3, first 2 shown]
	v_add_f16_e32 v123, v125, v123
	v_mul_f16_e32 v125, 0x3b7b, v96
	v_add_f16_e32 v1, v2, v1
	v_fma_f16 v2, v45, s19, -v100
	v_fma_f16 v126, v95, s19, v125
	v_add_f16_e32 v0, v0, v3
	v_add_f16_e32 v2, v74, v2
	v_fma_f16 v3, v92, s21, -v106
	v_add_f16_e32 v123, v126, v123
	v_mul_f16_e32 v126, 0x3770, v99
	v_add_f16_e32 v2, v3, v2
	v_fma_f16 v3, v95, s8, -v110
	v_fma_f16 v127, v98, s8, v126
	v_add_f16_e32 v2, v3, v2
	v_fma_f16 v3, v98, s16, -v111
	v_add_f16_e32 v123, v127, v123
	v_mul_f16_e32 v127, 0xba95, v102
	v_add_f16_e32 v2, v3, v2
	v_fma_f16 v3, v101, s22, -v112
	v_fma_f16 v128, v101, s14, v127
	v_add_f16_e32 v2, v3, v2
	v_fma_f16 v3, v104, s14, -v113
	v_add_f16_e32 v123, v128, v123
	v_mul_f16_e32 v128, 0xb94e, v105
	v_add_f16_e32 v2, v3, v2
	v_fma_f16 v3, v56, s18, v114
	v_fma_f16 v129, v104, s21, v128
	v_add_f16_e32 v3, v76, v3
	v_fma_f16 v4, v60, s25, v117
	v_add_f16_e32 v123, v129, v123
	v_mul_f16_e32 v129, 0x388b, v48
	v_add_f16_e32 v3, v4, v3
	v_fma_f16 v4, v63, s28, v118
	v_fma_f16 v130, v56, s27, v129
	v_mul_f16_e32 v131, 0xb5ac, v49
	v_add_f16_e32 v3, v4, v3
	v_fma_f16 v4, v86, s17, v119
	v_add_f16_e32 v130, v76, v130
	v_fma_f16 v132, v60, s28, v131
	;; [unrolled: 2-line block ×3, first 2 shown]
	v_add_f16_e32 v130, v132, v130
	v_mul_f16_e32 v132, 0xbbc4, v46
	v_add_f16_e32 v3, v4, v3
	v_fma_f16 v4, v84, s23, v121
	v_fma_f16 v133, v63, s29, v132
	v_add_f16_e32 v3, v4, v3
	v_fma_f16 v4, v45, s16, -v122
	v_add_f16_e32 v130, v133, v130
	v_mul_f16_e32 v133, 0xb9fd, v47
	v_add_f16_e32 v4, v74, v4
	v_fma_f16 v5, v92, s22, -v124
	v_fma_f16 v134, v86, s23, v133
	v_add_f16_e32 v4, v5, v4
	v_fma_f16 v5, v95, s19, -v125
	v_add_f16_e32 v130, v134, v130
	v_mul_f16_e32 v134, 0x2fb7, v42
	v_add_f16_e32 v4, v5, v4
	v_fma_f16 v5, v98, s8, -v126
	;; [unrolled: 7-line block ×3, first 2 shown]
	v_fma_f16 v136, v84, s9, v135
	v_add_f16_e32 v4, v5, v4
	v_fma_f16 v5, v56, s15, v129
	v_add_f16_e32 v130, v136, v130
	v_mul_f16_e32 v136, 0xba95, v81
	v_add_f16_e32 v5, v76, v5
	v_fma_f16 v6, v60, s20, v131
	v_fma_f16 v137, v45, s14, v136
	v_mul_f16_e32 v138, 0xbb7b, v93
	v_add_f16_e32 v5, v6, v5
	v_fma_f16 v6, v63, s25, v132
	v_add_f16_e32 v137, v74, v137
	v_fma_f16 v139, v92, s19, v138
	;; [unrolled: 2-line block ×3, first 2 shown]
	v_add_f16_e32 v137, v139, v137
	v_mul_f16_e32 v139, 0xb3a8, v96
	v_add_f16_e32 v5, v6, v5
	v_fma_f16 v6, v88, s24, v134
	v_fma_f16 v140, v95, s22, v139
	v_add_f16_e32 v5, v6, v5
	v_fma_f16 v6, v84, s17, v135
	v_add_f16_e32 v137, v140, v137
	v_mul_f16_e32 v140, 0x394e, v99
	v_add_f16_e32 v5, v6, v5
	v_fma_f16 v6, v45, s14, -v136
	v_fma_f16 v141, v98, s21, v140
	v_add_f16_e32 v6, v74, v6
	v_fma_f16 v7, v92, s19, -v138
	v_add_f16_e32 v137, v141, v137
	v_mul_f16_e32 v141, 0x3bf1, v102
	v_add_f16_e32 v6, v7, v6
	v_fma_f16 v7, v95, s22, -v139
	v_fma_f16 v142, v101, s16, v141
	v_add_f16_e32 v6, v7, v6
	v_fma_f16 v7, v98, s21, -v140
	v_add_f16_e32 v137, v142, v137
	v_mul_f16_e32 v142, 0x3770, v105
	v_add_f16_e32 v6, v7, v6
	v_fma_f16 v7, v101, s16, -v141
	v_fma_f16 v143, v104, s8, v142
	v_mul_f16_e32 v48, 0x3b15, v48
	v_add_f16_e32 v6, v7, v6
	v_fma_f16 v7, v104, s8, -v142
	v_add_f16_e32 v137, v143, v137
	v_fma_f16 v143, v56, s17, v48
	v_mul_f16_e32 v49, 0x388b, v49
	v_add_f16_e32 v6, v7, v6
	v_fma_f16 v7, v56, s9, v48
	v_add_f16_e32 v143, v76, v143
	v_fma_f16 v144, v60, s27, v49
	v_mul_f16_e32 v46, 0x2fb7, v46
	v_add_f16_e32 v54, v74, v54
	v_add_f16_e32 v0, v0, v8
	;; [unrolled: 1-line block ×3, first 2 shown]
	v_fma_f16 v8, v60, s15, v49
	v_add_f16_e32 v143, v144, v143
	v_fma_f16 v144, v63, s24, v46
	v_mul_f16_e32 v47, 0xb5ac, v47
	v_add_f16_e32 v54, v54, v58
	v_add_f16_e32 v7, v8, v7
	v_fma_f16 v8, v63, s18, v46
	v_add_f16_e32 v143, v144, v143
	v_fma_f16 v144, v86, s28, v47
	v_mul_f16_e32 v42, 0xb9fd, v42
	v_add_f16_e32 v53, v54, v53
	v_add_f16_e32 v7, v8, v7
	;; [unrolled: 6-line block ×5, first 2 shown]
	v_add_f16_e32 v7, v8, v7
	v_fma_f16 v8, v45, s8, -v81
	v_add_f16_e32 v144, v74, v144
	v_fma_f16 v145, v92, s14, v93
	v_mul_f16_e32 v96, 0xbbf1, v96
	v_add_f16_e32 v50, v50, v82
	v_add_f16_e32 v0, v0, v10
	;; [unrolled: 1-line block ×3, first 2 shown]
	v_fma_f16 v9, v92, s14, -v93
	v_lshrrev_b32_e32 v10, 2, v18
	v_add_f16_e32 v144, v145, v144
	v_fma_f16 v145, v95, s16, v96
	v_mul_f16_e32 v99, 0xbb7b, v99
	v_add_f16_e32 v50, v50, v85
	v_add_f16_e32 v8, v9, v8
	v_fma_f16 v9, v95, s16, -v96
	v_mul_lo_u32 v10, v10, 52
	v_add_f16_e32 v144, v145, v144
	v_fma_f16 v145, v98, s19, v99
	v_mul_f16_e32 v102, 0xb94e, v102
	v_add_f16_e32 v50, v50, v65
	v_add_f16_e32 v8, v9, v8
	v_fma_f16 v9, v98, s19, -v99
	v_add_f16_e32 v144, v145, v144
	v_fma_f16 v145, v101, s21, v102
	v_mul_f16_e32 v105, 0xb3a8, v105
	v_add_f16_e32 v50, v50, v62
	v_add_f16_e32 v8, v9, v8
	v_fma_f16 v9, v101, s21, -v102
	v_add_f16_e32 v144, v145, v144
	v_fma_f16 v145, v104, s22, v105
	v_add_f16_e32 v50, v50, v59
	v_add_f16_e32 v8, v9, v8
	v_fma_f16 v9, v104, s22, -v105
	v_add_f16_e32 v144, v145, v144
	v_add_f16_e32 v50, v50, v55
	;; [unrolled: 1-line block ×4, first 2 shown]
	v_or_b32_e32 v9, v10, v80
	v_lshl_add_u32 v9, v9, 2, 0
	v_pack_b32_f16 v0, v50, v0
	v_pack_b32_f16 v10, v144, v143
	ds_write2_b32 v9, v0, v10 offset1:4
	v_pack_b32_f16 v0, v137, v130
	v_pack_b32_f16 v10, v123, v116
	ds_write2_b32 v9, v0, v10 offset0:8 offset1:12
	v_pack_b32_f16 v0, v103, v83
	v_pack_b32_f16 v10, v61, v57
	ds_write2_b32 v9, v0, v10 offset0:16 offset1:20
	;; [unrolled: 3-line block ×5, first 2 shown]
	v_pack_b32_f16 v0, v8, v7
	ds_write_b32 v9, v0 offset:192
.LBB0_23:
	s_or_b64 exec, exec, s[6:7]
	v_mul_u32_u24_e32 v0, 6, v14
	v_lshlrev_b32_e32 v0, 2, v0
	s_waitcnt lgkmcnt(0)
	; wave barrier
	s_waitcnt lgkmcnt(0)
	global_load_dwordx4 v[42:45], v0, s[12:13] offset:200
	global_load_dwordx2 v[4:5], v0, s[12:13] offset:216
	s_movk_i32 s2, 0x4f
	v_mul_lo_u16_sdwa v3, v33, s2 dst_sel:DWORD dst_unused:UNUSED_PAD src0_sel:BYTE_0 src1_sel:DWORD
	v_lshrrev_b16_e32 v3, 12, v3
	v_mul_lo_u16_e32 v3, 52, v3
	v_sub_u16_e32 v3, v33, v3
	v_add_u32_e32 v1, v69, v78
	v_and_b32_e32 v69, 0xff, v3
	v_mul_u32_u24_e32 v3, 6, v69
	v_lshlrev_b32_e32 v64, 2, v3
	global_load_dwordx4 v[46:49], v64, s[12:13] offset:200
	v_add_u32_e32 v2, v35, v77
	v_add_u32_e32 v7, 0x800, v23
	;; [unrolled: 1-line block ×4, first 2 shown]
	ds_read2_b32 v[10:11], v23 offset1:208
	v_add_u32_e32 v0, v70, v79
	v_add_u32_e32 v8, 0xc00, v23
	ds_read_b32 v6, v68
	v_add_u32_e32 v9, 0x400, v23
	v_add_u32_e32 v3, v31, v75
	ds_read2_b32 v[50:51], v7 offset0:60 offset1:112
	ds_read2_b32 v[52:53], v8 offset0:12 offset1:64
	;; [unrolled: 1-line block ×7, first 2 shown]
	ds_read_b32 v31, v2
	ds_read_b32 v35, v1
	ds_read_b32 v70, v0
	ds_read_b32 v74, v3
	global_load_dwordx2 v[64:65], v64, s[12:13] offset:216
	s_waitcnt lgkmcnt(12)
	v_lshrrev_b32_e32 v75, 16, v11
	s_waitcnt lgkmcnt(3)
	v_lshrrev_b32_e32 v90, 16, v31
	v_lshrrev_b32_e32 v79, 16, v57
	s_waitcnt lgkmcnt(2)
	v_lshrrev_b32_e32 v91, 16, v35
	;; [unrolled: 3-line block ×3, first 2 shown]
	v_lshrrev_b32_e32 v81, 16, v60
	v_lshrrev_b32_e32 v76, 16, v51
	;; [unrolled: 1-line block ×12, first 2 shown]
	s_movk_i32 s2, 0x2b26
	s_mov_b32 s3, 0xbb00
	s_mov_b32 s6, 0xbcab
	s_movk_i32 s7, 0x39e0
	s_mov_b32 s8, 0xb9e0
	s_mov_b32 s9, 0xb574
	s_movk_i32 s14, 0x3574
	s_mov_b32 s15, 0xb70e
	s_waitcnt lgkmcnt(0)
	; wave barrier
	s_waitcnt vmcnt(3) lgkmcnt(0)
	v_mul_f16_sdwa v93, v42, v90 dst_sel:DWORD dst_unused:UNUSED_PAD src0_sel:WORD_1 src1_sel:DWORD
	v_mul_f16_sdwa v94, v42, v31 dst_sel:DWORD dst_unused:UNUSED_PAD src0_sel:WORD_1 src1_sel:DWORD
	v_mul_f16_sdwa v105, v75, v42 dst_sel:DWORD dst_unused:UNUSED_PAD src0_sel:DWORD src1_sel:WORD_1
	v_mul_f16_sdwa v106, v11, v42 dst_sel:DWORD dst_unused:UNUSED_PAD src0_sel:DWORD src1_sel:WORD_1
	v_fma_f16 v31, v42, v31, v93
	v_fma_f16 v90, v42, v90, -v94
	v_fma_f16 v11, v11, v42, v105
	v_fma_f16 v42, v75, v42, -v106
	v_mul_f16_sdwa v75, v79, v43 dst_sel:DWORD dst_unused:UNUSED_PAD src0_sel:DWORD src1_sel:WORD_1
	v_mul_f16_sdwa v95, v43, v91 dst_sel:DWORD dst_unused:UNUSED_PAD src0_sel:WORD_1 src1_sel:DWORD
	v_mul_f16_sdwa v96, v43, v35 dst_sel:DWORD dst_unused:UNUSED_PAD src0_sel:WORD_1 src1_sel:DWORD
	v_fma_f16 v75, v57, v43, v75
	v_mul_f16_sdwa v57, v57, v43 dst_sel:DWORD dst_unused:UNUSED_PAD src0_sel:DWORD src1_sel:WORD_1
	v_fma_f16 v35, v43, v35, v95
	v_fma_f16 v91, v43, v91, -v96
	v_fma_f16 v43, v79, v43, -v57
	v_mul_f16_sdwa v57, v80, v44 dst_sel:DWORD dst_unused:UNUSED_PAD src0_sel:DWORD src1_sel:WORD_1
	v_mul_f16_sdwa v97, v44, v92 dst_sel:DWORD dst_unused:UNUSED_PAD src0_sel:WORD_1 src1_sel:DWORD
	v_mul_f16_sdwa v98, v44, v70 dst_sel:DWORD dst_unused:UNUSED_PAD src0_sel:WORD_1 src1_sel:DWORD
	v_fma_f16 v57, v59, v44, v57
	v_mul_f16_sdwa v59, v59, v44 dst_sel:DWORD dst_unused:UNUSED_PAD src0_sel:DWORD src1_sel:WORD_1
	v_fma_f16 v70, v44, v70, v97
	v_fma_f16 v92, v44, v92, -v98
	v_fma_f16 v44, v80, v44, -v59
	v_mul_f16_sdwa v59, v81, v45 dst_sel:DWORD dst_unused:UNUSED_PAD src0_sel:DWORD src1_sel:WORD_1
	v_mul_f16_sdwa v99, v76, v45 dst_sel:DWORD dst_unused:UNUSED_PAD src0_sel:DWORD src1_sel:WORD_1
	;; [unrolled: 1-line block ×3, first 2 shown]
	v_fma_f16 v59, v60, v45, v59
	v_mul_f16_sdwa v60, v60, v45 dst_sel:DWORD dst_unused:UNUSED_PAD src0_sel:DWORD src1_sel:WORD_1
	v_fma_f16 v51, v51, v45, v99
	v_fma_f16 v76, v76, v45, -v100
	v_fma_f16 v45, v81, v45, -v60
	s_waitcnt vmcnt(2)
	v_mul_f16_sdwa v60, v82, v4 dst_sel:DWORD dst_unused:UNUSED_PAD src0_sel:DWORD src1_sel:WORD_1
	v_mul_f16_sdwa v101, v77, v4 dst_sel:DWORD dst_unused:UNUSED_PAD src0_sel:DWORD src1_sel:WORD_1
	;; [unrolled: 1-line block ×3, first 2 shown]
	v_fma_f16 v60, v53, v4, v60
	v_mul_f16_sdwa v53, v53, v4 dst_sel:DWORD dst_unused:UNUSED_PAD src0_sel:DWORD src1_sel:WORD_1
	v_fma_f16 v52, v52, v4, v101
	v_fma_f16 v77, v77, v4, -v102
	v_fma_f16 v4, v82, v4, -v53
	v_mul_f16_sdwa v53, v83, v5 dst_sel:DWORD dst_unused:UNUSED_PAD src0_sel:DWORD src1_sel:WORD_1
	v_mul_f16_sdwa v103, v78, v5 dst_sel:DWORD dst_unused:UNUSED_PAD src0_sel:DWORD src1_sel:WORD_1
	;; [unrolled: 1-line block ×3, first 2 shown]
	v_fma_f16 v53, v62, v5, v53
	v_mul_f16_sdwa v62, v62, v5 dst_sel:DWORD dst_unused:UNUSED_PAD src0_sel:DWORD src1_sel:WORD_1
	v_fma_f16 v55, v55, v5, v103
	v_fma_f16 v78, v78, v5, -v104
	v_fma_f16 v5, v83, v5, -v62
	s_waitcnt vmcnt(1)
	v_mul_f16_sdwa v62, v84, v46 dst_sel:DWORD dst_unused:UNUSED_PAD src0_sel:DWORD src1_sel:WORD_1
	v_fma_f16 v62, v56, v46, v62
	v_mul_f16_sdwa v56, v56, v46 dst_sel:DWORD dst_unused:UNUSED_PAD src0_sel:DWORD src1_sel:WORD_1
	v_fma_f16 v46, v84, v46, -v56
	v_mul_f16_sdwa v56, v85, v47 dst_sel:DWORD dst_unused:UNUSED_PAD src0_sel:DWORD src1_sel:WORD_1
	v_fma_f16 v56, v58, v47, v56
	v_mul_f16_sdwa v58, v58, v47 dst_sel:DWORD dst_unused:UNUSED_PAD src0_sel:DWORD src1_sel:WORD_1
	v_fma_f16 v47, v85, v47, -v58
	;; [unrolled: 4-line block ×4, first 2 shown]
	s_waitcnt vmcnt(0)
	v_mul_f16_sdwa v61, v88, v64 dst_sel:DWORD dst_unused:UNUSED_PAD src0_sel:DWORD src1_sel:WORD_1
	v_fma_f16 v61, v54, v64, v61
	v_mul_f16_sdwa v54, v54, v64 dst_sel:DWORD dst_unused:UNUSED_PAD src0_sel:DWORD src1_sel:WORD_1
	v_fma_f16 v54, v88, v64, -v54
	v_mul_f16_sdwa v64, v89, v65 dst_sel:DWORD dst_unused:UNUSED_PAD src0_sel:DWORD src1_sel:WORD_1
	v_fma_f16 v64, v63, v65, v64
	v_mul_f16_sdwa v63, v63, v65 dst_sel:DWORD dst_unused:UNUSED_PAD src0_sel:DWORD src1_sel:WORD_1
	v_fma_f16 v63, v89, v65, -v63
	v_add_f16_e32 v65, v31, v55
	v_add_f16_e32 v79, v90, v78
	v_sub_f16_e32 v31, v31, v55
	v_sub_f16_e32 v55, v90, v78
	v_add_f16_e32 v78, v35, v52
	v_add_f16_e32 v80, v91, v77
	v_sub_f16_e32 v35, v35, v52
	v_sub_f16_e32 v52, v91, v77
	;; [unrolled: 4-line block ×4, first 2 shown]
	v_sub_f16_e32 v65, v65, v77
	v_sub_f16_e32 v79, v79, v81
	;; [unrolled: 1-line block ×4, first 2 shown]
	v_add_f16_e32 v85, v51, v35
	v_add_f16_e32 v86, v70, v52
	v_sub_f16_e32 v87, v51, v35
	v_sub_f16_e32 v88, v70, v52
	;; [unrolled: 1-line block ×4, first 2 shown]
	v_add_f16_e32 v76, v77, v76
	v_add_f16_e32 v77, v81, v82
	v_sub_f16_e32 v51, v31, v51
	v_sub_f16_e32 v70, v55, v70
	v_add_f16_e32 v31, v85, v31
	v_add_f16_e32 v55, v86, v55
	;; [unrolled: 1-line block ×3, first 2 shown]
	v_add_f16_sdwa v10, v77, v10 dst_sel:DWORD dst_unused:UNUSED_PAD src0_sel:DWORD src1_sel:WORD_1
	v_mul_f16_e32 v65, 0x3a52, v65
	v_mul_f16_e32 v79, 0x3a52, v79
	v_mul_f16_e32 v82, 0x2b26, v78
	v_mul_f16_e32 v85, 0x2b26, v80
	v_mul_f16_e32 v86, 0x3846, v87
	v_mul_f16_e32 v87, 0x3846, v88
	v_mul_f16_e32 v88, 0xbb00, v35
	v_mul_f16_e32 v89, 0xbb00, v52
	v_fma_f16 v76, v76, s6, v81
	v_fma_f16 v77, v77, s6, v10
	;; [unrolled: 1-line block ×4, first 2 shown]
	v_fma_f16 v82, v83, s7, -v82
	v_fma_f16 v85, v84, s7, -v85
	;; [unrolled: 1-line block ×4, first 2 shown]
	v_fma_f16 v83, v51, s9, v86
	v_fma_f16 v84, v70, s9, v87
	v_fma_f16 v35, v35, s3, -v86
	v_fma_f16 v51, v51, s14, -v88
	;; [unrolled: 1-line block ×4, first 2 shown]
	v_add_f16_e32 v78, v78, v76
	v_add_f16_e32 v80, v80, v77
	;; [unrolled: 1-line block ×6, first 2 shown]
	v_fma_f16 v77, v31, s15, v83
	v_fma_f16 v79, v55, s15, v84
	;; [unrolled: 1-line block ×6, first 2 shown]
	v_add_f16_e32 v55, v79, v78
	v_sub_f16_e32 v70, v80, v77
	v_add_f16_e32 v83, v51, v65
	v_sub_f16_e32 v84, v76, v31
	v_sub_f16_e32 v51, v65, v51
	v_add_f16_e32 v31, v31, v76
	v_sub_f16_e32 v65, v78, v79
	v_add_f16_e32 v76, v77, v80
	v_add_f16_e32 v77, v11, v53
	;; [unrolled: 1-line block ×3, first 2 shown]
	v_sub_f16_e32 v11, v11, v53
	v_sub_f16_e32 v5, v42, v5
	v_add_f16_e32 v42, v75, v60
	v_add_f16_e32 v53, v43, v4
	v_sub_f16_e32 v60, v75, v60
	v_sub_f16_e32 v4, v43, v4
	v_add_f16_e32 v43, v57, v59
	v_add_f16_e32 v75, v44, v45
	;; [unrolled: 4-line block ×3, first 2 shown]
	v_sub_f16_e32 v86, v82, v52
	v_add_f16_e32 v87, v35, v85
	v_add_f16_e32 v52, v52, v82
	v_sub_f16_e32 v35, v85, v35
	v_sub_f16_e32 v79, v42, v77
	;; [unrolled: 1-line block ×7, first 2 shown]
	v_add_f16_e32 v82, v57, v60
	v_add_f16_e32 v85, v44, v4
	v_sub_f16_e32 v88, v57, v60
	v_sub_f16_e32 v89, v44, v4
	;; [unrolled: 1-line block ×4, first 2 shown]
	v_add_f16_e32 v43, v43, v45
	v_add_f16_e32 v45, v75, v59
	v_sub_f16_e32 v57, v11, v57
	v_sub_f16_e32 v44, v5, v44
	v_add_f16_e32 v11, v82, v11
	v_add_f16_e32 v5, v85, v5
	;; [unrolled: 1-line block ×3, first 2 shown]
	v_add_f16_sdwa v6, v45, v6 dst_sel:DWORD dst_unused:UNUSED_PAD src0_sel:DWORD src1_sel:WORD_1
	v_mul_f16_e32 v75, 0x3a52, v77
	v_mul_f16_e32 v77, 0x3a52, v78
	;; [unrolled: 1-line block ×8, first 2 shown]
	v_fma_f16 v43, v43, s6, v59
	v_fma_f16 v45, v45, s6, v6
	;; [unrolled: 1-line block ×4, first 2 shown]
	v_fma_f16 v78, v79, s7, -v78
	v_fma_f16 v82, v80, s7, -v82
	;; [unrolled: 1-line block ×4, first 2 shown]
	v_fma_f16 v79, v57, s9, v85
	v_fma_f16 v80, v44, s9, v88
	v_fma_f16 v60, v60, s3, -v85
	v_fma_f16 v4, v4, s3, -v88
	;; [unrolled: 1-line block ×4, first 2 shown]
	v_add_f16_e32 v42, v42, v43
	v_add_f16_e32 v53, v53, v45
	;; [unrolled: 1-line block ×6, first 2 shown]
	v_fma_f16 v75, v11, s15, v79
	v_fma_f16 v77, v5, s15, v80
	;; [unrolled: 1-line block ×6, first 2 shown]
	v_sub_f16_e32 v57, v53, v75
	v_add_f16_e32 v79, v5, v43
	v_sub_f16_e32 v80, v45, v11
	v_sub_f16_e32 v5, v43, v5
	v_add_f16_e32 v11, v11, v45
	v_add_f16_e32 v43, v75, v53
	v_add_f16_e32 v45, v62, v64
	v_add_f16_e32 v53, v46, v63
	v_sub_f16_e32 v62, v62, v64
	v_sub_f16_e32 v46, v46, v63
	v_add_f16_e32 v63, v56, v61
	v_add_f16_e32 v64, v47, v54
	v_sub_f16_e32 v56, v56, v61
	v_sub_f16_e32 v47, v47, v54
	v_add_f16_e32 v54, v58, v50
	v_add_f16_e32 v61, v48, v49
	;; [unrolled: 4-line block ×3, first 2 shown]
	v_add_f16_e32 v44, v77, v42
	v_sub_f16_e32 v85, v78, v4
	v_add_f16_e32 v88, v60, v82
	v_add_f16_e32 v4, v4, v78
	v_sub_f16_e32 v60, v82, v60
	v_sub_f16_e32 v42, v42, v77
	;; [unrolled: 1-line block ×8, first 2 shown]
	v_add_f16_e32 v78, v50, v56
	v_add_f16_e32 v82, v48, v47
	v_sub_f16_e32 v89, v50, v56
	v_sub_f16_e32 v90, v48, v47
	;; [unrolled: 1-line block ×4, first 2 shown]
	v_add_f16_e32 v49, v54, v49
	v_add_f16_e32 v54, v61, v58
	v_sub_f16_e32 v50, v62, v50
	v_sub_f16_e32 v48, v46, v48
	v_add_f16_e32 v58, v78, v62
	v_add_f16_e32 v46, v82, v46
	v_add_f16_e32 v61, v49, v74
	v_add_f16_sdwa v62, v54, v74 dst_sel:DWORD dst_unused:UNUSED_PAD src0_sel:DWORD src1_sel:WORD_1
	v_mul_f16_e32 v45, 0x3a52, v45
	v_mul_f16_e32 v53, 0x3a52, v53
	;; [unrolled: 1-line block ×8, first 2 shown]
	v_fma_f16 v49, v49, s6, v61
	v_fma_f16 v54, v54, s6, v62
	;; [unrolled: 1-line block ×4, first 2 shown]
	v_fma_f16 v74, v75, s7, -v74
	v_fma_f16 v78, v77, s7, -v78
	;; [unrolled: 1-line block ×4, first 2 shown]
	v_fma_f16 v75, v50, s9, v82
	v_fma_f16 v77, v48, s9, v89
	v_fma_f16 v47, v47, s3, -v89
	v_fma_f16 v50, v50, s14, -v90
	;; [unrolled: 1-line block ×4, first 2 shown]
	v_add_f16_e32 v63, v63, v49
	v_add_f16_e32 v64, v64, v54
	;; [unrolled: 1-line block ×6, first 2 shown]
	v_fma_f16 v53, v58, s15, v75
	v_fma_f16 v54, v46, s15, v77
	;; [unrolled: 1-line block ×6, first 2 shown]
	v_sub_f16_e32 v58, v64, v53
	v_add_f16_e32 v75, v46, v45
	v_sub_f16_e32 v77, v49, v50
	v_sub_f16_e32 v45, v45, v46
	v_add_f16_e32 v46, v50, v49
	v_add_f16_e32 v50, v53, v64
	v_pack_b32_f16 v10, v81, v10
	v_pack_b32_f16 v53, v55, v70
	ds_write2_b32 v23, v10, v53 offset1:52
	v_pack_b32_f16 v10, v83, v84
	v_pack_b32_f16 v53, v86, v87
	ds_write2_b32 v23, v10, v53 offset0:104 offset1:156
	v_pack_b32_f16 v10, v52, v35
	v_pack_b32_f16 v31, v51, v31
	v_add_u32_e32 v35, 0x200, v23
	ds_write2_b32 v35, v10, v31 offset0:80 offset1:132
	v_pack_b32_f16 v10, v65, v76
	v_pack_b32_f16 v6, v59, v6
	ds_write2_b32 v9, v10, v6 offset0:56 offset1:108
	v_pack_b32_f16 v6, v44, v57
	v_pack_b32_f16 v10, v79, v80
	;; [unrolled: 3-line block ×4, first 2 shown]
	v_add_f16_e32 v48, v54, v63
	ds_write2_b32 v7, v4, v5 offset0:112 offset1:164
	v_lshl_add_u32 v4, v69, 2, 0
	v_sub_f16_e32 v82, v74, v47
	v_add_f16_e32 v89, v56, v78
	v_pack_b32_f16 v5, v61, v62
	v_pack_b32_f16 v6, v48, v58
	v_add_u32_e32 v10, 0xa00, v4
	v_add_f16_e32 v47, v47, v74
	v_sub_f16_e32 v56, v78, v56
	ds_write2_b32 v10, v5, v6 offset0:88 offset1:140
	v_pack_b32_f16 v5, v75, v77
	v_pack_b32_f16 v6, v82, v89
	v_add_u32_e32 v10, 0xc00, v4
	v_sub_f16_e32 v49, v63, v54
	ds_write2_b32 v10, v5, v6 offset0:64 offset1:116
	v_pack_b32_f16 v5, v47, v56
	v_pack_b32_f16 v6, v45, v46
	ds_write2_b32 v10, v5, v6 offset0:168 offset1:220
	v_pack_b32_f16 v5, v49, v50
	v_mov_b32_e32 v35, 0
	ds_write_b32 v4, v5 offset:4160
	v_lshlrev_b64 v[4:5], 2, v[34:35]
	v_mov_b32_e32 v42, v35
	v_mov_b32_e32 v31, s13
	v_add_co_u32_e64 v4, s[2:3], s12, v4
	v_lshlrev_b64 v[41:42], 2, v[41:42]
	v_addc_co_u32_e64 v5, s[2:3], v31, v5, s[2:3]
	v_add_co_u32_e64 v41, s[2:3], s12, v41
	v_addc_co_u32_e64 v42, s[2:3], v31, v42, s[2:3]
	s_waitcnt lgkmcnt(0)
	; wave barrier
	s_waitcnt lgkmcnt(0)
	global_load_dwordx2 v[42:43], v[41:42], off offset:1448
	v_mov_b32_e32 v41, v35
	v_lshlrev_b64 v[40:41], 2, v[40:41]
	global_load_dwordx2 v[10:11], v[4:5], off offset:1448
	v_add_co_u32_e64 v40, s[2:3], s12, v40
	v_addc_co_u32_e64 v41, s[2:3], v31, v41, s[2:3]
	global_load_dwordx2 v[44:45], v[40:41], off offset:1448
	v_mov_b32_e32 v40, v35
	v_lshlrev_b64 v[39:40], 2, v[39:40]
	v_add_u32_e32 v6, v27, v72
	v_add_co_u32_e64 v39, s[2:3], s12, v39
	v_addc_co_u32_e64 v40, s[2:3], v31, v40, s[2:3]
	ds_read_b32 v34, v23
	v_add_u32_e32 v5, v25, v71
	ds_read_b32 v25, v6
	ds_read_b32 v27, v5
	global_load_dwordx2 v[40:41], v[39:40], off offset:1448
	v_mov_b32_e32 v39, v35
	v_lshlrev_b64 v[38:39], 2, v[38:39]
	v_add_u32_e32 v4, v29, v73
	v_add_co_u32_e64 v38, s[2:3], s12, v38
	v_addc_co_u32_e64 v39, s[2:3], v31, v39, s[2:3]
	global_load_dwordx2 v[46:47], v[38:39], off offset:1448
	v_mov_b32_e32 v38, v35
	v_lshlrev_b64 v[37:38], 2, v[37:38]
	v_add_u32_e32 v48, 0xa00, v23
	v_add_co_u32_e64 v37, s[2:3], s12, v37
	v_addc_co_u32_e64 v38, s[2:3], v31, v38, s[2:3]
	global_load_dwordx2 v[38:39], v[37:38], off offset:1448
	v_mov_b32_e32 v37, v35
	v_lshlrev_b64 v[36:37], 2, v[36:37]
	ds_read_b32 v29, v4
	ds_read_b32 v58, v3
	;; [unrolled: 1-line block ×3, first 2 shown]
	v_add_co_u32_e64 v36, s[2:3], s12, v36
	v_addc_co_u32_e64 v37, s[2:3], v31, v37, s[2:3]
	global_load_dwordx2 v[36:37], v[36:37], off offset:1448
	ds_read_b32 v31, v2
	ds_read_b32 v60, v23 offset:4160
	ds_read_b32 v62, v68
	ds_read2_b32 v[48:49], v48 offset0:88 offset1:140
	ds_read2_b32 v[50:51], v9 offset0:160 offset1:212
	;; [unrolled: 1-line block ×3, first 2 shown]
	s_waitcnt lgkmcnt(8)
	v_lshrrev_b32_e32 v81, 16, v29
	ds_read2_b32 v[54:55], v7 offset0:8 offset1:60
	ds_read2_b32 v[8:9], v8 offset0:168 offset1:220
	s_waitcnt lgkmcnt(3)
	v_lshrrev_b32_e32 v65, 16, v51
	s_waitcnt lgkmcnt(2)
	v_lshrrev_b32_e32 v69, 16, v52
	v_lshrrev_b32_e32 v72, 16, v53
	s_waitcnt lgkmcnt(1)
	v_lshrrev_b32_e32 v71, 16, v54
	ds_read2_b32 v[56:57], v7 offset0:112 offset1:164
	v_lshrrev_b32_e32 v73, 16, v55
	s_waitcnt lgkmcnt(1)
	v_lshrrev_b32_e32 v74, 16, v8
	v_lshrrev_b32_e32 v77, 16, v9
	;; [unrolled: 1-line block ×3, first 2 shown]
	s_waitcnt lgkmcnt(0)
	v_lshrrev_b32_e32 v76, 16, v56
	v_lshrrev_b32_e32 v79, 16, v57
	;; [unrolled: 1-line block ×3, first 2 shown]
	s_mov_b32 s2, 0xbaee
	s_movk_i32 s3, 0x3aee
	v_lshrrev_b32_e32 v63, 16, v62
	v_lshrrev_b32_e32 v64, 16, v58
	;; [unrolled: 1-line block ×6, first 2 shown]
	s_waitcnt lgkmcnt(0)
	; wave barrier
	s_add_u32 s8, s12, 0x1108
	s_addc_u32 s9, s13, 0
	s_waitcnt vmcnt(5)
	v_mul_f16_sdwa v82, v10, v81 dst_sel:DWORD dst_unused:UNUSED_PAD src0_sel:WORD_1 src1_sel:DWORD
	v_fma_f16 v82, v10, v29, v82
	v_mul_f16_sdwa v29, v10, v29 dst_sel:DWORD dst_unused:UNUSED_PAD src0_sel:WORD_1 src1_sel:DWORD
	v_fma_f16 v10, v10, v81, -v29
	v_lshrrev_b32_e32 v29, 16, v48
	v_mul_f16_sdwa v81, v11, v29 dst_sel:DWORD dst_unused:UNUSED_PAD src0_sel:WORD_1 src1_sel:DWORD
	v_fma_f16 v81, v11, v48, v81
	v_mul_f16_sdwa v48, v11, v48 dst_sel:DWORD dst_unused:UNUSED_PAD src0_sel:WORD_1 src1_sel:DWORD
	v_fma_f16 v11, v11, v29, -v48
	v_lshrrev_b32_e32 v29, 16, v50
	;; [unrolled: 5-line block ×3, first 2 shown]
	v_mul_f16_sdwa v50, v43, v42 dst_sel:DWORD dst_unused:UNUSED_PAD src0_sel:WORD_1 src1_sel:DWORD
	v_fma_f16 v50, v43, v49, v50
	v_mul_f16_sdwa v49, v43, v49 dst_sel:DWORD dst_unused:UNUSED_PAD src0_sel:WORD_1 src1_sel:DWORD
	v_fma_f16 v42, v43, v42, -v49
	s_waitcnt vmcnt(4)
	v_mul_f16_sdwa v43, v65, v44 dst_sel:DWORD dst_unused:UNUSED_PAD src0_sel:DWORD src1_sel:WORD_1
	v_mul_f16_sdwa v49, v51, v44 dst_sel:DWORD dst_unused:UNUSED_PAD src0_sel:DWORD src1_sel:WORD_1
	v_fma_f16 v43, v51, v44, v43
	v_fma_f16 v44, v65, v44, -v49
	v_mul_f16_sdwa v49, v69, v45 dst_sel:DWORD dst_unused:UNUSED_PAD src0_sel:DWORD src1_sel:WORD_1
	v_mul_f16_sdwa v51, v52, v45 dst_sel:DWORD dst_unused:UNUSED_PAD src0_sel:DWORD src1_sel:WORD_1
	v_fma_f16 v49, v52, v45, v49
	v_fma_f16 v45, v69, v45, -v51
	s_waitcnt vmcnt(3)
	v_mul_f16_sdwa v51, v71, v40 dst_sel:DWORD dst_unused:UNUSED_PAD src0_sel:DWORD src1_sel:WORD_1
	v_mul_f16_sdwa v52, v54, v40 dst_sel:DWORD dst_unused:UNUSED_PAD src0_sel:DWORD src1_sel:WORD_1
	v_fma_f16 v51, v54, v40, v51
	v_fma_f16 v40, v71, v40, -v52
	v_mul_f16_sdwa v52, v72, v41 dst_sel:DWORD dst_unused:UNUSED_PAD src0_sel:DWORD src1_sel:WORD_1
	v_fma_f16 v52, v53, v41, v52
	v_mul_f16_sdwa v53, v53, v41 dst_sel:DWORD dst_unused:UNUSED_PAD src0_sel:DWORD src1_sel:WORD_1
	v_fma_f16 v41, v72, v41, -v53
	s_waitcnt vmcnt(2)
	v_mul_f16_sdwa v53, v73, v46 dst_sel:DWORD dst_unused:UNUSED_PAD src0_sel:DWORD src1_sel:WORD_1
	v_mul_f16_sdwa v54, v55, v46 dst_sel:DWORD dst_unused:UNUSED_PAD src0_sel:DWORD src1_sel:WORD_1
	v_fma_f16 v53, v55, v46, v53
	v_fma_f16 v46, v73, v46, -v54
	v_mul_f16_sdwa v54, v74, v47 dst_sel:DWORD dst_unused:UNUSED_PAD src0_sel:DWORD src1_sel:WORD_1
	v_fma_f16 v54, v8, v47, v54
	v_mul_f16_sdwa v8, v8, v47 dst_sel:DWORD dst_unused:UNUSED_PAD src0_sel:DWORD src1_sel:WORD_1
	;; [unrolled: 9-line block ×4, first 2 shown]
	v_add_f16_e32 v60, v82, v81
	v_fma_f16 v37, v80, v37, -v57
	v_add_f16_e32 v57, v34, v82
	v_fma_f16 v34, v60, -0.5, v34
	v_sub_f16_e32 v60, v10, v11
	v_fma_f16 v65, v60, s2, v34
	v_fma_f16 v34, v60, s3, v34
	v_add_f16_e32 v60, v61, v10
	v_add_f16_e32 v10, v10, v11
	;; [unrolled: 1-line block ×3, first 2 shown]
	v_fma_f16 v10, v10, -0.5, v61
	v_sub_f16_e32 v11, v82, v81
	v_add_f16_e32 v69, v48, v50
	v_fma_f16 v61, v11, s3, v10
	v_fma_f16 v10, v11, s2, v10
	v_add_f16_e32 v11, v62, v48
	v_fma_f16 v62, v69, -0.5, v62
	v_sub_f16_e32 v69, v29, v42
	v_fma_f16 v71, v69, s2, v62
	v_fma_f16 v62, v69, s3, v62
	v_add_f16_e32 v69, v63, v29
	v_add_f16_e32 v29, v29, v42
	;; [unrolled: 1-line block ×4, first 2 shown]
	v_fma_f16 v29, v29, -0.5, v63
	v_sub_f16_e32 v42, v48, v50
	v_add_f16_e32 v50, v43, v49
	v_fma_f16 v48, v42, s3, v29
	v_fma_f16 v29, v42, s2, v29
	v_add_f16_e32 v42, v58, v43
	v_fma_f16 v50, v50, -0.5, v58
	v_sub_f16_e32 v58, v44, v45
	v_fma_f16 v63, v58, s2, v50
	v_fma_f16 v50, v58, s3, v50
	v_add_f16_e32 v58, v64, v44
	v_add_f16_e32 v44, v44, v45
	;; [unrolled: 1-line block ×3, first 2 shown]
	v_fma_f16 v44, v44, -0.5, v64
	v_sub_f16_e32 v43, v43, v49
	v_add_f16_e32 v49, v51, v52
	v_add_f16_e32 v58, v58, v45
	v_fma_f16 v45, v43, s3, v44
	v_fma_f16 v43, v43, s2, v44
	v_add_f16_e32 v44, v31, v51
	v_fma_f16 v31, v49, -0.5, v31
	v_sub_f16_e32 v49, v40, v41
	v_fma_f16 v64, v49, s2, v31
	v_fma_f16 v31, v49, s3, v31
	v_add_f16_e32 v49, v70, v40
	v_add_f16_e32 v40, v40, v41
	;; [unrolled: 1-line block ×4, first 2 shown]
	v_fma_f16 v40, v40, -0.5, v70
	v_sub_f16_e32 v41, v51, v52
	v_add_f16_e32 v52, v53, v54
	v_fma_f16 v51, v41, s3, v40
	v_fma_f16 v40, v41, s2, v40
	v_add_f16_e32 v41, v25, v53
	v_fma_f16 v25, v52, -0.5, v25
	v_sub_f16_e32 v52, v46, v8
	v_fma_f16 v70, v52, s2, v25
	v_fma_f16 v25, v52, s3, v25
	v_add_f16_e32 v52, v7, v46
	v_add_f16_e32 v52, v52, v8
	;; [unrolled: 1-line block ×3, first 2 shown]
	v_fma_f16 v7, v8, -0.5, v7
	v_sub_f16_e32 v8, v53, v54
	v_add_f16_e32 v53, v47, v55
	v_fma_f16 v46, v8, s3, v7
	v_fma_f16 v7, v8, s2, v7
	v_add_f16_e32 v8, v27, v47
	v_fma_f16 v27, v53, -0.5, v27
	v_sub_f16_e32 v53, v38, v9
	v_add_f16_e32 v41, v41, v54
	v_fma_f16 v54, v53, s2, v27
	v_fma_f16 v27, v53, s3, v27
	v_add_f16_e32 v53, v75, v38
	v_add_f16_e32 v53, v53, v9
	;; [unrolled: 1-line block ×4, first 2 shown]
	v_fma_f16 v9, v9, -0.5, v75
	v_sub_f16_e32 v38, v47, v55
	v_add_f16_e32 v55, v39, v56
	v_fma_f16 v47, v38, s3, v9
	v_fma_f16 v9, v38, s2, v9
	v_add_f16_e32 v38, v59, v39
	v_fma_f16 v55, v55, -0.5, v59
	v_sub_f16_e32 v59, v36, v37
	v_fma_f16 v72, v59, s2, v55
	v_fma_f16 v55, v59, s3, v55
	v_add_f16_e32 v59, v78, v36
	v_add_f16_e32 v36, v36, v37
	;; [unrolled: 1-line block ×4, first 2 shown]
	v_fma_f16 v36, v36, -0.5, v78
	v_sub_f16_e32 v37, v39, v56
	v_fma_f16 v39, v37, s3, v36
	v_fma_f16 v36, v37, s2, v36
	v_pack_b32_f16 v37, v57, v60
	v_pack_b32_f16 v10, v34, v10
	ds_write_b32 v23, v37
	v_pack_b32_f16 v37, v65, v61
	ds_write_b32 v23, v10 offset:2912
	v_pack_b32_f16 v10, v11, v69
	ds_write_b32 v23, v37 offset:1456
	ds_write_b32 v68, v10
	v_pack_b32_f16 v10, v71, v48
	ds_write_b32 v68, v10 offset:1456
	v_pack_b32_f16 v10, v62, v29
	ds_write_b32 v68, v10 offset:2912
	v_pack_b32_f16 v10, v42, v58
	ds_write_b32 v3, v10
	v_pack_b32_f16 v10, v63, v45
	ds_write_b32 v3, v10 offset:1456
	v_pack_b32_f16 v10, v50, v43
	ds_write_b32 v3, v10 offset:2912
	v_pack_b32_f16 v10, v44, v49
	;; [unrolled: 6-line block ×3, first 2 shown]
	v_pack_b32_f16 v7, v25, v7
	ds_write_b32 v6, v10
	v_pack_b32_f16 v10, v70, v46
	ds_write_b32 v6, v7 offset:2912
	v_pack_b32_f16 v7, v8, v53
	ds_write_b32 v6, v10 offset:1456
	ds_write_b32 v5, v7
	v_pack_b32_f16 v7, v54, v47
	v_add_f16_e32 v38, v38, v56
	ds_write_b32 v5, v7 offset:1456
	v_pack_b32_f16 v7, v27, v9
	ds_write_b32 v5, v7 offset:2912
	v_pack_b32_f16 v7, v38, v59
	ds_write_b32 v1, v7
	v_pack_b32_f16 v7, v72, v39
	ds_write_b32 v1, v7 offset:1456
	v_pack_b32_f16 v7, v55, v36
	ds_write_b32 v1, v7 offset:2912
	s_waitcnt lgkmcnt(0)
	; wave barrier
	s_waitcnt lgkmcnt(0)
	ds_read_b32 v25, v23
	v_sub_u32_e32 v7, 0, v15
	v_cmp_ne_u32_e64 s[2:3], 0, v14
                                        ; implicit-def: $vgpr10
                                        ; implicit-def: $vgpr9
                                        ; implicit-def: $vgpr11
	s_and_saveexec_b64 s[6:7], s[2:3]
	s_xor_b64 s[6:7], exec, s[6:7]
	s_cbranch_execz .LBB0_25
; %bb.24:
	v_mov_b32_e32 v15, v35
	v_lshlrev_b64 v[8:9], 2, v[14:15]
	v_mov_b32_e32 v10, s9
	v_add_co_u32_e64 v8, s[2:3], s8, v8
	v_addc_co_u32_e64 v9, s[2:3], v10, v9, s[2:3]
	global_load_dword v8, v[8:9], off
	ds_read_b32 v9, v7 offset:4368
	s_waitcnt lgkmcnt(0)
	v_add_f16_sdwa v11, v9, v25 dst_sel:DWORD dst_unused:UNUSED_PAD src0_sel:WORD_1 src1_sel:WORD_1
	v_sub_f16_e32 v15, v25, v9
	v_add_f16_e32 v10, v9, v25
	v_sub_f16_sdwa v9, v25, v9 dst_sel:DWORD dst_unused:UNUSED_PAD src0_sel:WORD_1 src1_sel:WORD_1
	v_mul_f16_e32 v25, 0.5, v11
	v_mul_f16_e32 v15, 0.5, v15
	;; [unrolled: 1-line block ×3, first 2 shown]
	s_waitcnt vmcnt(0)
	v_lshrrev_b32_e32 v11, 16, v8
	v_mul_f16_e32 v27, v11, v15
	v_fma_f16 v29, v25, v11, v9
	v_fma_f16 v31, v25, v11, -v9
	v_fma_f16 v9, v10, 0.5, v27
	v_fma_f16 v10, v10, 0.5, -v27
	v_fma_f16 v27, v8, v25, v9
	v_fma_f16 v11, -v8, v15, v29
	v_fma_f16 v9, -v8, v25, v10
	ds_write_b16 v23, v27
	v_fma_f16 v10, -v8, v15, v31
                                        ; implicit-def: $vgpr25
.LBB0_25:
	s_or_saveexec_b64 s[2:3], s[6:7]
	v_sub_u32_e32 v8, 0, v19
	s_xor_b64 exec, exec, s[2:3]
	s_cbranch_execz .LBB0_27
; %bb.26:
	v_mov_b32_e32 v11, 0
	ds_read_u16 v10, v11 offset:2186
	s_waitcnt lgkmcnt(1)
	v_add_f16_sdwa v15, v25, v25 dst_sel:DWORD dst_unused:UNUSED_PAD src0_sel:WORD_1 src1_sel:DWORD
	v_sub_f16_sdwa v9, v25, v25 dst_sel:DWORD dst_unused:UNUSED_PAD src0_sel:DWORD src1_sel:WORD_1
	ds_write_b16 v23, v15
	s_waitcnt lgkmcnt(1)
	v_xor_b32_e32 v10, 0x8000, v10
	ds_write_b16 v11, v10 offset:2186
	v_mov_b32_e32 v10, 0
.LBB0_27:
	s_or_b64 exec, exec, s[2:3]
	v_mov_b32_e32 v19, 0
	v_lshlrev_b64 v[34:35], 2, v[18:19]
	v_mov_b32_e32 v15, s9
	v_add_co_u32_e64 v34, s[2:3], s8, v34
	v_addc_co_u32_e64 v35, s[2:3], v15, v35, s[2:3]
	global_load_dword v15, v[34:35], off
	v_mov_b32_e32 v34, v19
	v_lshlrev_b64 v[33:34], 2, v[33:34]
	ds_write_b16 v23, v11 offset:2
	v_mov_b32_e32 v11, s9
	v_add_co_u32_e64 v33, s[2:3], s8, v33
	v_addc_co_u32_e64 v34, s[2:3], v11, v34, s[2:3]
	global_load_dword v11, v[33:34], off
	s_mov_b32 s7, 0x5040100
	v_perm_b32 v9, v10, v9, s7
	v_mov_b32_e32 v23, v19
	ds_write_b32 v7, v9 offset:4368
	v_lshlrev_b64 v[9:10], 2, v[22:23]
	v_mov_b32_e32 v18, s9
	v_add_co_u32_e64 v9, s[2:3], s8, v9
	v_addc_co_u32_e64 v10, s[2:3], v18, v10, s[2:3]
	global_load_dword v18, v[9:10], off
	s_waitcnt lgkmcnt(2)
	v_mov_b32_e32 v25, v19
	v_lshlrev_b64 v[22:23], 2, v[24:25]
	v_mov_b32_e32 v27, v19
	v_mov_b32_e32 v35, s9
	v_lshlrev_b64 v[24:25], 2, v[26:27]
	v_add_co_u32_e64 v9, s[2:3], s8, v22
	v_mov_b32_e32 v29, v19
	v_addc_co_u32_e64 v10, s[2:3], v35, v23, s[2:3]
	v_mov_b32_e32 v36, s9
	v_lshlrev_b64 v[26:27], 2, v[28:29]
	v_add_co_u32_e64 v22, s[2:3], s8, v24
	v_mov_b32_e32 v31, v19
	v_addc_co_u32_e64 v23, s[2:3], v36, v25, s[2:3]
	;; [unrolled: 5-line block ×3, first 2 shown]
	v_mov_b32_e32 v37, s9
	v_lshlrev_b64 v[30:31], 2, v[32:33]
	v_add_co_u32_e64 v26, s[2:3], s8, v28
	v_addc_co_u32_e64 v27, s[2:3], v37, v29, s[2:3]
	v_mov_b32_e32 v38, s9
	v_add_co_u32_e64 v28, s[2:3], s8, v30
	ds_read_b32 v39, v7 offset:4160
	ds_read_b32 v32, v68
	v_addc_co_u32_e64 v29, s[2:3], v38, v31, s[2:3]
	global_load_dword v30, v[9:10], off
	global_load_dword v31, v[22:23], off
	;; [unrolled: 1-line block ×5, first 2 shown]
	s_mov_b32 s6, 0xffff
	s_waitcnt lgkmcnt(0)
	v_pk_add_f16 v9, v32, v39 neg_lo:[0,1] neg_hi:[0,1]
	v_pk_add_f16 v10, v32, v39
	v_bfi_b32 v22, s6, v9, v10
	v_bfi_b32 v9, s6, v10, v9
	v_pk_mul_f16 v10, v22, 0.5 op_sel_hi:[1,0]
	v_pk_mul_f16 v9, v9, 0.5 op_sel_hi:[1,0]
	s_waitcnt vmcnt(7)
	v_pk_fma_f16 v22, v15, v10, v9 op_sel:[1,0,0]
	v_pk_mul_f16 v23, v15, v10 op_sel_hi:[0,1]
	v_pk_fma_f16 v24, v15, v10, v9 op_sel:[1,0,0] neg_lo:[1,0,0] neg_hi:[1,0,0]
	v_pk_fma_f16 v9, v15, v10, v9 op_sel:[1,0,0] neg_lo:[0,0,1] neg_hi:[0,0,1]
	v_pk_add_f16 v10, v22, v23 op_sel:[0,1] op_sel_hi:[1,0]
	v_pk_add_f16 v15, v22, v23 op_sel:[0,1] op_sel_hi:[1,0] neg_lo:[0,1] neg_hi:[0,1]
	v_pk_add_f16 v22, v24, v23 op_sel:[0,1] op_sel_hi:[1,0] neg_lo:[0,1] neg_hi:[0,1]
	;; [unrolled: 1-line block ×3, first 2 shown]
	v_bfi_b32 v10, s6, v10, v15
	v_bfi_b32 v9, s6, v22, v9
	ds_write_b32 v68, v10
	ds_write_b32 v7, v9 offset:4160
	ds_read_b32 v9, v3
	ds_read_b32 v10, v7 offset:3952
	s_waitcnt lgkmcnt(0)
	v_pk_add_f16 v15, v9, v10 neg_lo:[0,1] neg_hi:[0,1]
	v_pk_add_f16 v9, v9, v10
	v_bfi_b32 v10, s6, v15, v9
	v_bfi_b32 v9, s6, v9, v15
	v_pk_mul_f16 v10, v10, 0.5 op_sel_hi:[1,0]
	v_pk_mul_f16 v9, v9, 0.5 op_sel_hi:[1,0]
	s_waitcnt vmcnt(6)
	v_pk_fma_f16 v15, v11, v10, v9 op_sel:[1,0,0]
	v_pk_mul_f16 v22, v11, v10 op_sel_hi:[0,1]
	v_pk_add_f16 v23, v15, v22 op_sel:[0,1] op_sel_hi:[1,0]
	v_pk_add_f16 v15, v15, v22 op_sel:[0,1] op_sel_hi:[1,0] neg_lo:[0,1] neg_hi:[0,1]
	v_bfi_b32 v15, s6, v23, v15
	ds_write_b32 v3, v15
	v_pk_fma_f16 v3, v11, v10, v9 op_sel:[1,0,0] neg_lo:[1,0,0] neg_hi:[1,0,0]
	v_pk_fma_f16 v9, v11, v10, v9 op_sel:[1,0,0] neg_lo:[0,0,1] neg_hi:[0,0,1]
	v_pk_add_f16 v3, v3, v22 op_sel:[0,1] op_sel_hi:[1,0] neg_lo:[0,1] neg_hi:[0,1]
	v_pk_add_f16 v9, v9, v22 op_sel:[0,1] op_sel_hi:[1,0] neg_lo:[0,1] neg_hi:[0,1]
	v_bfi_b32 v3, s6, v3, v9
	ds_write_b32 v7, v3 offset:3952
	ds_read_b32 v3, v2
	ds_read_b32 v9, v7 offset:3744
	v_mov_b32_e32 v22, v19
	s_waitcnt lgkmcnt(0)
	v_pk_add_f16 v10, v3, v9 neg_lo:[0,1] neg_hi:[0,1]
	v_pk_add_f16 v3, v3, v9
	v_bfi_b32 v9, s6, v10, v3
	v_bfi_b32 v3, s6, v3, v10
	v_pk_mul_f16 v9, v9, 0.5 op_sel_hi:[1,0]
	v_pk_mul_f16 v3, v3, 0.5 op_sel_hi:[1,0]
	s_waitcnt vmcnt(5)
	v_pk_fma_f16 v10, v18, v9, v3 op_sel:[1,0,0]
	v_pk_mul_f16 v11, v18, v9 op_sel_hi:[0,1]
	v_pk_add_f16 v15, v10, v11 op_sel:[0,1] op_sel_hi:[1,0]
	v_pk_add_f16 v10, v10, v11 op_sel:[0,1] op_sel_hi:[1,0] neg_lo:[0,1] neg_hi:[0,1]
	v_bfi_b32 v10, s6, v15, v10
	ds_write_b32 v2, v10
	v_pk_fma_f16 v2, v18, v9, v3 op_sel:[1,0,0] neg_lo:[1,0,0] neg_hi:[1,0,0]
	v_pk_fma_f16 v3, v18, v9, v3 op_sel:[1,0,0] neg_lo:[0,0,1] neg_hi:[0,0,1]
	v_pk_add_f16 v2, v2, v11 op_sel:[0,1] op_sel_hi:[1,0] neg_lo:[0,1] neg_hi:[0,1]
	v_pk_add_f16 v3, v3, v11 op_sel:[0,1] op_sel_hi:[1,0] neg_lo:[0,1] neg_hi:[0,1]
	v_bfi_b32 v2, s6, v2, v3
	ds_write_b32 v7, v2 offset:3744
	ds_read_b32 v2, v6
	ds_read_b32 v3, v7 offset:3536
	s_waitcnt lgkmcnt(0)
	v_pk_add_f16 v9, v2, v3 neg_lo:[0,1] neg_hi:[0,1]
	v_pk_add_f16 v2, v2, v3
	v_bfi_b32 v3, s6, v9, v2
	v_bfi_b32 v2, s6, v2, v9
	v_pk_mul_f16 v3, v3, 0.5 op_sel_hi:[1,0]
	v_pk_mul_f16 v2, v2, 0.5 op_sel_hi:[1,0]
	s_waitcnt vmcnt(4)
	v_pk_fma_f16 v9, v30, v3, v2 op_sel:[1,0,0]
	v_pk_mul_f16 v10, v30, v3 op_sel_hi:[0,1]
	v_pk_add_f16 v11, v9, v10 op_sel:[0,1] op_sel_hi:[1,0]
	v_pk_add_f16 v9, v9, v10 op_sel:[0,1] op_sel_hi:[1,0] neg_lo:[0,1] neg_hi:[0,1]
	v_bfi_b32 v9, s6, v11, v9
	ds_write_b32 v6, v9
	v_pk_fma_f16 v6, v30, v3, v2 op_sel:[1,0,0] neg_lo:[1,0,0] neg_hi:[1,0,0]
	v_pk_fma_f16 v2, v30, v3, v2 op_sel:[1,0,0] neg_lo:[0,0,1] neg_hi:[0,0,1]
	v_pk_add_f16 v6, v6, v10 op_sel:[0,1] op_sel_hi:[1,0] neg_lo:[0,1] neg_hi:[0,1]
	v_pk_add_f16 v2, v2, v10 op_sel:[0,1] op_sel_hi:[1,0] neg_lo:[0,1] neg_hi:[0,1]
	v_bfi_b32 v2, s6, v6, v2
	ds_write_b32 v7, v2 offset:3536
	ds_read_b32 v2, v5
	ds_read_b32 v3, v7 offset:3328
	s_waitcnt lgkmcnt(0)
	v_pk_add_f16 v6, v2, v3 neg_lo:[0,1] neg_hi:[0,1]
	v_pk_add_f16 v2, v2, v3
	v_bfi_b32 v3, s6, v6, v2
	v_bfi_b32 v2, s6, v2, v6
	v_pk_mul_f16 v3, v3, 0.5 op_sel_hi:[1,0]
	v_pk_mul_f16 v2, v2, 0.5 op_sel_hi:[1,0]
	s_waitcnt vmcnt(3)
	v_pk_fma_f16 v6, v31, v3, v2 op_sel:[1,0,0]
	v_pk_mul_f16 v9, v31, v3 op_sel_hi:[0,1]
	v_pk_add_f16 v10, v6, v9 op_sel:[0,1] op_sel_hi:[1,0]
	v_pk_add_f16 v6, v6, v9 op_sel:[0,1] op_sel_hi:[1,0] neg_lo:[0,1] neg_hi:[0,1]
	v_bfi_b32 v6, s6, v10, v6
	ds_write_b32 v5, v6
	v_pk_fma_f16 v5, v31, v3, v2 op_sel:[1,0,0] neg_lo:[1,0,0] neg_hi:[1,0,0]
	v_pk_fma_f16 v2, v31, v3, v2 op_sel:[1,0,0] neg_lo:[0,0,1] neg_hi:[0,0,1]
	v_pk_add_f16 v5, v5, v9 op_sel:[0,1] op_sel_hi:[1,0] neg_lo:[0,1] neg_hi:[0,1]
	v_pk_add_f16 v2, v2, v9 op_sel:[0,1] op_sel_hi:[1,0] neg_lo:[0,1] neg_hi:[0,1]
	v_bfi_b32 v2, s6, v5, v2
	ds_write_b32 v7, v2 offset:3328
	v_lshlrev_b64 v[2:3], 2, v[21:22]
	v_mov_b32_e32 v9, s9
	v_add_co_u32_e64 v2, s[2:3], s8, v2
	v_addc_co_u32_e64 v3, s[2:3], v9, v3, s[2:3]
	ds_read_b32 v5, v1
	ds_read_b32 v6, v7 offset:3120
	global_load_dword v2, v[2:3], off
	s_waitcnt lgkmcnt(0)
	v_pk_add_f16 v3, v5, v6 neg_lo:[0,1] neg_hi:[0,1]
	v_pk_add_f16 v5, v5, v6
	v_bfi_b32 v6, s6, v3, v5
	v_bfi_b32 v3, s6, v5, v3
	v_pk_mul_f16 v5, v6, 0.5 op_sel_hi:[1,0]
	v_pk_mul_f16 v3, v3, 0.5 op_sel_hi:[1,0]
	s_waitcnt vmcnt(3)
	v_pk_fma_f16 v6, v33, v5, v3 op_sel:[1,0,0]
	v_pk_mul_f16 v9, v33, v5 op_sel_hi:[0,1]
	v_pk_add_f16 v10, v6, v9 op_sel:[0,1] op_sel_hi:[1,0]
	v_pk_add_f16 v6, v6, v9 op_sel:[0,1] op_sel_hi:[1,0] neg_lo:[0,1] neg_hi:[0,1]
	v_bfi_b32 v6, s6, v10, v6
	ds_write_b32 v1, v6
	v_pk_fma_f16 v1, v33, v5, v3 op_sel:[1,0,0] neg_lo:[1,0,0] neg_hi:[1,0,0]
	v_pk_fma_f16 v3, v33, v5, v3 op_sel:[1,0,0] neg_lo:[0,0,1] neg_hi:[0,0,1]
	v_pk_add_f16 v1, v1, v9 op_sel:[0,1] op_sel_hi:[1,0] neg_lo:[0,1] neg_hi:[0,1]
	v_pk_add_f16 v3, v3, v9 op_sel:[0,1] op_sel_hi:[1,0] neg_lo:[0,1] neg_hi:[0,1]
	v_bfi_b32 v1, s6, v1, v3
	ds_write_b32 v7, v1 offset:3120
	ds_read_b32 v1, v4
	ds_read_b32 v3, v7 offset:2912
	s_waitcnt lgkmcnt(0)
	v_pk_add_f16 v5, v1, v3 neg_lo:[0,1] neg_hi:[0,1]
	v_pk_add_f16 v1, v1, v3
	v_bfi_b32 v3, s6, v5, v1
	v_bfi_b32 v1, s6, v1, v5
	v_pk_mul_f16 v3, v3, 0.5 op_sel_hi:[1,0]
	v_pk_mul_f16 v1, v1, 0.5 op_sel_hi:[1,0]
	s_waitcnt vmcnt(2)
	v_pk_fma_f16 v5, v34, v3, v1 op_sel:[1,0,0]
	v_pk_mul_f16 v6, v34, v3 op_sel_hi:[0,1]
	v_pk_add_f16 v9, v5, v6 op_sel:[0,1] op_sel_hi:[1,0]
	v_pk_add_f16 v5, v5, v6 op_sel:[0,1] op_sel_hi:[1,0] neg_lo:[0,1] neg_hi:[0,1]
	v_bfi_b32 v5, s6, v9, v5
	ds_write_b32 v4, v5
	v_pk_fma_f16 v4, v34, v3, v1 op_sel:[1,0,0] neg_lo:[1,0,0] neg_hi:[1,0,0]
	v_pk_fma_f16 v1, v34, v3, v1 op_sel:[1,0,0] neg_lo:[0,0,1] neg_hi:[0,0,1]
	v_pk_add_f16 v4, v4, v6 op_sel:[0,1] op_sel_hi:[1,0] neg_lo:[0,1] neg_hi:[0,1]
	v_pk_add_f16 v1, v1, v6 op_sel:[0,1] op_sel_hi:[1,0] neg_lo:[0,1] neg_hi:[0,1]
	v_bfi_b32 v1, s6, v4, v1
	ds_write_b32 v7, v1 offset:2912
	v_add_u32_e32 v1, v66, v8
	ds_read_b32 v3, v1
	ds_read_b32 v4, v7 offset:2704
	s_waitcnt lgkmcnt(0)
	v_pk_add_f16 v5, v3, v4 neg_lo:[0,1] neg_hi:[0,1]
	v_pk_add_f16 v3, v3, v4
	v_bfi_b32 v4, s6, v5, v3
	v_bfi_b32 v3, s6, v3, v5
	v_pk_mul_f16 v4, v4, 0.5 op_sel_hi:[1,0]
	v_pk_mul_f16 v3, v3, 0.5 op_sel_hi:[1,0]
	s_waitcnt vmcnt(1)
	v_pk_fma_f16 v5, v35, v4, v3 op_sel:[1,0,0]
	v_pk_mul_f16 v6, v35, v4 op_sel_hi:[0,1]
	v_pk_add_f16 v8, v5, v6 op_sel:[0,1] op_sel_hi:[1,0]
	v_pk_add_f16 v5, v5, v6 op_sel:[0,1] op_sel_hi:[1,0] neg_lo:[0,1] neg_hi:[0,1]
	v_bfi_b32 v5, s6, v8, v5
	ds_write_b32 v1, v5
	v_pk_fma_f16 v1, v35, v4, v3 op_sel:[1,0,0] neg_lo:[1,0,0] neg_hi:[1,0,0]
	v_pk_fma_f16 v3, v35, v4, v3 op_sel:[1,0,0] neg_lo:[0,0,1] neg_hi:[0,0,1]
	v_pk_add_f16 v1, v1, v6 op_sel:[0,1] op_sel_hi:[1,0] neg_lo:[0,1] neg_hi:[0,1]
	v_pk_add_f16 v3, v3, v6 op_sel:[0,1] op_sel_hi:[1,0] neg_lo:[0,1] neg_hi:[0,1]
	v_bfi_b32 v1, s6, v1, v3
	ds_write_b32 v7, v1 offset:2704
	ds_read_b32 v1, v0
	ds_read_b32 v3, v7 offset:2496
	s_waitcnt lgkmcnt(0)
	v_pk_add_f16 v4, v1, v3 neg_lo:[0,1] neg_hi:[0,1]
	v_pk_add_f16 v1, v1, v3
	v_bfi_b32 v3, s6, v4, v1
	v_bfi_b32 v1, s6, v1, v4
	v_pk_mul_f16 v3, v3, 0.5 op_sel_hi:[1,0]
	v_pk_mul_f16 v1, v1, 0.5 op_sel_hi:[1,0]
	s_waitcnt vmcnt(0)
	v_pk_fma_f16 v4, v2, v3, v1 op_sel:[1,0,0]
	v_pk_mul_f16 v5, v2, v3 op_sel_hi:[0,1]
	v_pk_add_f16 v6, v4, v5 op_sel:[0,1] op_sel_hi:[1,0]
	v_pk_add_f16 v4, v4, v5 op_sel:[0,1] op_sel_hi:[1,0] neg_lo:[0,1] neg_hi:[0,1]
	v_bfi_b32 v4, s6, v6, v4
	ds_write_b32 v0, v4
	v_pk_fma_f16 v0, v2, v3, v1 op_sel:[1,0,0] neg_lo:[1,0,0] neg_hi:[1,0,0]
	v_pk_fma_f16 v1, v2, v3, v1 op_sel:[1,0,0] neg_lo:[0,0,1] neg_hi:[0,0,1]
	v_pk_add_f16 v0, v0, v5 op_sel:[0,1] op_sel_hi:[1,0] neg_lo:[0,1] neg_hi:[0,1]
	v_pk_add_f16 v1, v1, v5 op_sel:[0,1] op_sel_hi:[1,0] neg_lo:[0,1] neg_hi:[0,1]
	v_bfi_b32 v0, s6, v0, v1
	ds_write_b32 v7, v0 offset:2496
	s_and_saveexec_b64 s[2:3], vcc
	s_cbranch_execz .LBB0_29
; %bb.28:
	v_mov_b32_e32 v21, v19
	v_lshlrev_b64 v[0:1], 2, v[20:21]
	v_mov_b32_e32 v2, s9
	v_add_co_u32_e32 v0, vcc, s8, v0
	v_addc_co_u32_e32 v1, vcc, v2, v1, vcc
	global_load_dword v0, v[0:1], off
	ds_read_b32 v1, v67
	ds_read_b32 v2, v7 offset:2288
	s_waitcnt lgkmcnt(0)
	v_pk_add_f16 v3, v1, v2 neg_lo:[0,1] neg_hi:[0,1]
	v_pk_add_f16 v1, v1, v2
	v_bfi_b32 v2, s6, v3, v1
	v_bfi_b32 v1, s6, v1, v3
	v_pk_mul_f16 v2, v2, 0.5 op_sel_hi:[1,0]
	v_pk_mul_f16 v1, v1, 0.5 op_sel_hi:[1,0]
	s_waitcnt vmcnt(0)
	v_pk_fma_f16 v3, v0, v2, v1 op_sel:[1,0,0]
	v_pk_mul_f16 v4, v0, v2 op_sel_hi:[0,1]
	v_pk_fma_f16 v5, v0, v2, v1 op_sel:[1,0,0] neg_lo:[1,0,0] neg_hi:[1,0,0]
	v_pk_fma_f16 v0, v0, v2, v1 op_sel:[1,0,0] neg_lo:[0,0,1] neg_hi:[0,0,1]
	v_pk_add_f16 v1, v3, v4 op_sel:[0,1] op_sel_hi:[1,0]
	v_pk_add_f16 v2, v3, v4 op_sel:[0,1] op_sel_hi:[1,0] neg_lo:[0,1] neg_hi:[0,1]
	v_pk_add_f16 v3, v5, v4 op_sel:[0,1] op_sel_hi:[1,0] neg_lo:[0,1] neg_hi:[0,1]
	v_pk_add_f16 v0, v0, v4 op_sel:[0,1] op_sel_hi:[1,0] neg_lo:[0,1] neg_hi:[0,1]
	v_bfi_b32 v1, s6, v1, v2
	v_bfi_b32 v0, s6, v3, v0
	ds_write_b32 v67, v1
	ds_write_b32 v7, v0 offset:2288
.LBB0_29:
	s_or_b64 exec, exec, s[2:3]
	s_waitcnt lgkmcnt(0)
	; wave barrier
	s_waitcnt lgkmcnt(0)
	s_and_saveexec_b64 s[2:3], s[0:1]
	s_cbranch_execz .LBB0_32
; %bb.30:
	v_mul_lo_u32 v2, s5, v16
	v_mul_lo_u32 v3, s4, v17
	v_mad_u64_u32 v[0:1], s[0:1], s4, v16, 0
	v_mov_b32_e32 v4, s11
	v_lshl_add_u32 v6, v14, 2, 0
	v_add3_u32 v1, v1, v3, v2
	v_lshlrev_b64 v[0:1], 2, v[0:1]
	v_mov_b32_e32 v15, 0
	v_add_co_u32_e32 v0, vcc, s10, v0
	v_addc_co_u32_e32 v7, vcc, v4, v1, vcc
	v_lshlrev_b64 v[4:5], 2, v[12:13]
	ds_read2_b32 v[2:3], v6 offset1:52
	v_add_co_u32_e32 v1, vcc, v0, v4
	v_addc_co_u32_e32 v0, vcc, v7, v5, vcc
	v_lshlrev_b64 v[4:5], 2, v[14:15]
	v_add_u32_e32 v7, 0x400, v6
	v_add_co_u32_e32 v4, vcc, v1, v4
	v_addc_co_u32_e32 v5, vcc, v0, v5, vcc
	s_waitcnt lgkmcnt(0)
	global_store_dword v[4:5], v2, off
	v_add_u32_e32 v4, 52, v14
	v_mov_b32_e32 v5, v15
	v_lshlrev_b64 v[4:5], 2, v[4:5]
	v_add_u32_e32 v2, 0x68, v14
	v_add_co_u32_e32 v4, vcc, v1, v4
	v_addc_co_u32_e32 v5, vcc, v0, v5, vcc
	global_store_dword v[4:5], v3, off
	v_mov_b32_e32 v3, v15
	ds_read2_b32 v[4:5], v6 offset0:104 offset1:156
	v_lshlrev_b64 v[2:3], 2, v[2:3]
	v_add_co_u32_e32 v2, vcc, v1, v2
	v_addc_co_u32_e32 v3, vcc, v0, v3, vcc
	s_waitcnt lgkmcnt(0)
	global_store_dword v[2:3], v4, off
	v_add_u32_e32 v2, 0x9c, v14
	v_mov_b32_e32 v3, v15
	v_lshlrev_b64 v[2:3], 2, v[2:3]
	v_add_u32_e32 v4, 0x200, v6
	v_add_co_u32_e32 v2, vcc, v1, v2
	v_addc_co_u32_e32 v3, vcc, v0, v3, vcc
	global_store_dword v[2:3], v5, off
	v_add_u32_e32 v2, 0xd0, v14
	v_mov_b32_e32 v3, v15
	ds_read2_b32 v[4:5], v4 offset0:80 offset1:132
	v_lshlrev_b64 v[2:3], 2, v[2:3]
	v_add_co_u32_e32 v2, vcc, v1, v2
	v_addc_co_u32_e32 v3, vcc, v0, v3, vcc
	s_waitcnt lgkmcnt(0)
	global_store_dword v[2:3], v4, off
	v_add_u32_e32 v2, 0x104, v14
	v_mov_b32_e32 v3, v15
	v_lshlrev_b64 v[2:3], 2, v[2:3]
	v_add_co_u32_e32 v2, vcc, v1, v2
	v_addc_co_u32_e32 v3, vcc, v0, v3, vcc
	global_store_dword v[2:3], v5, off
	v_add_u32_e32 v2, 0x138, v14
	v_mov_b32_e32 v3, v15
	ds_read2_b32 v[4:5], v7 offset0:56 offset1:108
	v_lshlrev_b64 v[2:3], 2, v[2:3]
	v_add_co_u32_e32 v2, vcc, v1, v2
	v_addc_co_u32_e32 v3, vcc, v0, v3, vcc
	s_waitcnt lgkmcnt(0)
	global_store_dword v[2:3], v4, off
	v_add_u32_e32 v2, 0x16c, v14
	v_mov_b32_e32 v3, v15
	v_lshlrev_b64 v[2:3], 2, v[2:3]
	v_add_co_u32_e32 v2, vcc, v1, v2
	v_addc_co_u32_e32 v3, vcc, v0, v3, vcc
	global_store_dword v[2:3], v5, off
	v_add_u32_e32 v2, 0x1a0, v14
	v_mov_b32_e32 v3, v15
	ds_read2_b32 v[4:5], v7 offset0:160 offset1:212
	v_lshlrev_b64 v[2:3], 2, v[2:3]
	v_add_u32_e32 v7, 0x800, v6
	v_add_co_u32_e32 v2, vcc, v1, v2
	v_addc_co_u32_e32 v3, vcc, v0, v3, vcc
	s_waitcnt lgkmcnt(0)
	global_store_dword v[2:3], v4, off
	v_add_u32_e32 v2, 0x1d4, v14
	v_mov_b32_e32 v3, v15
	v_lshlrev_b64 v[2:3], 2, v[2:3]
	v_add_co_u32_e32 v2, vcc, v1, v2
	v_addc_co_u32_e32 v3, vcc, v0, v3, vcc
	global_store_dword v[2:3], v5, off
	v_add_u32_e32 v2, 0x208, v14
	v_mov_b32_e32 v3, v15
	ds_read2_b32 v[4:5], v7 offset0:8 offset1:60
	v_lshlrev_b64 v[2:3], 2, v[2:3]
	v_add_co_u32_e32 v2, vcc, v1, v2
	v_addc_co_u32_e32 v3, vcc, v0, v3, vcc
	s_waitcnt lgkmcnt(0)
	global_store_dword v[2:3], v4, off
	v_add_u32_e32 v2, 0x23c, v14
	v_mov_b32_e32 v3, v15
	v_lshlrev_b64 v[2:3], 2, v[2:3]
	v_add_co_u32_e32 v2, vcc, v1, v2
	v_addc_co_u32_e32 v3, vcc, v0, v3, vcc
	global_store_dword v[2:3], v5, off
	v_add_u32_e32 v2, 0x270, v14
	v_mov_b32_e32 v3, v15
	ds_read2_b32 v[4:5], v7 offset0:112 offset1:164
	v_lshlrev_b64 v[2:3], 2, v[2:3]
	v_add_u32_e32 v7, 0xc00, v6
	v_add_co_u32_e32 v2, vcc, v1, v2
	v_addc_co_u32_e32 v3, vcc, v0, v3, vcc
	s_waitcnt lgkmcnt(0)
	global_store_dword v[2:3], v4, off
	v_add_u32_e32 v2, 0x2a4, v14
	v_mov_b32_e32 v3, v15
	v_lshlrev_b64 v[2:3], 2, v[2:3]
	v_add_u32_e32 v4, 0xa00, v6
	v_add_co_u32_e32 v2, vcc, v1, v2
	v_addc_co_u32_e32 v3, vcc, v0, v3, vcc
	global_store_dword v[2:3], v5, off
	v_add_u32_e32 v2, 0x2d8, v14
	v_mov_b32_e32 v3, v15
	ds_read2_b32 v[4:5], v4 offset0:88 offset1:140
	v_lshlrev_b64 v[2:3], 2, v[2:3]
	v_add_co_u32_e32 v2, vcc, v1, v2
	v_addc_co_u32_e32 v3, vcc, v0, v3, vcc
	s_waitcnt lgkmcnt(0)
	global_store_dword v[2:3], v4, off
	v_add_u32_e32 v2, 0x30c, v14
	v_mov_b32_e32 v3, v15
	v_lshlrev_b64 v[2:3], 2, v[2:3]
	v_add_co_u32_e32 v2, vcc, v1, v2
	v_addc_co_u32_e32 v3, vcc, v0, v3, vcc
	global_store_dword v[2:3], v5, off
	v_add_u32_e32 v2, 0x340, v14
	v_mov_b32_e32 v3, v15
	ds_read2_b32 v[4:5], v7 offset0:64 offset1:116
	v_lshlrev_b64 v[2:3], 2, v[2:3]
	v_add_co_u32_e32 v2, vcc, v1, v2
	v_addc_co_u32_e32 v3, vcc, v0, v3, vcc
	s_waitcnt lgkmcnt(0)
	global_store_dword v[2:3], v4, off
	v_add_u32_e32 v2, 0x374, v14
	v_mov_b32_e32 v3, v15
	v_lshlrev_b64 v[2:3], 2, v[2:3]
	;; [unrolled: 14-line block ×3, first 2 shown]
	ds_read_b32 v4, v6 offset:4160
	v_add_co_u32_e32 v2, vcc, v1, v2
	v_addc_co_u32_e32 v3, vcc, v0, v3, vcc
	global_store_dword v[2:3], v5, off
	v_add_u32_e32 v2, 0x410, v14
	v_mov_b32_e32 v3, v15
	v_lshlrev_b64 v[2:3], 2, v[2:3]
	v_add_co_u32_e32 v2, vcc, v1, v2
	v_addc_co_u32_e32 v3, vcc, v0, v3, vcc
	v_cmp_eq_u32_e32 vcc, 51, v14
	s_waitcnt lgkmcnt(0)
	global_store_dword v[2:3], v4, off
	s_and_b64 exec, exec, vcc
	s_cbranch_execz .LBB0_32
; %bb.31:
	ds_read_b32 v3, v15 offset:4368
	v_add_co_u32_e32 v1, vcc, 0x1000, v1
	v_addc_co_u32_e32 v2, vcc, 0, v0, vcc
	s_waitcnt lgkmcnt(0)
	global_store_dword v[1:2], v3, off offset:272
.LBB0_32:
	s_endpgm
	.section	.rodata,"a",@progbits
	.p2align	6, 0x0
	.amdhsa_kernel fft_rtc_back_len1092_factors_2_2_13_7_3_wgs_52_tpt_52_halfLds_half_op_CI_CI_unitstride_sbrr_R2C_dirReg
		.amdhsa_group_segment_fixed_size 0
		.amdhsa_private_segment_fixed_size 0
		.amdhsa_kernarg_size 104
		.amdhsa_user_sgpr_count 6
		.amdhsa_user_sgpr_private_segment_buffer 1
		.amdhsa_user_sgpr_dispatch_ptr 0
		.amdhsa_user_sgpr_queue_ptr 0
		.amdhsa_user_sgpr_kernarg_segment_ptr 1
		.amdhsa_user_sgpr_dispatch_id 0
		.amdhsa_user_sgpr_flat_scratch_init 0
		.amdhsa_user_sgpr_private_segment_size 0
		.amdhsa_uses_dynamic_stack 0
		.amdhsa_system_sgpr_private_segment_wavefront_offset 0
		.amdhsa_system_sgpr_workgroup_id_x 1
		.amdhsa_system_sgpr_workgroup_id_y 0
		.amdhsa_system_sgpr_workgroup_id_z 0
		.amdhsa_system_sgpr_workgroup_info 0
		.amdhsa_system_vgpr_workitem_id 0
		.amdhsa_next_free_vgpr 146
		.amdhsa_next_free_sgpr 30
		.amdhsa_reserve_vcc 1
		.amdhsa_reserve_flat_scratch 0
		.amdhsa_float_round_mode_32 0
		.amdhsa_float_round_mode_16_64 0
		.amdhsa_float_denorm_mode_32 3
		.amdhsa_float_denorm_mode_16_64 3
		.amdhsa_dx10_clamp 1
		.amdhsa_ieee_mode 1
		.amdhsa_fp16_overflow 0
		.amdhsa_exception_fp_ieee_invalid_op 0
		.amdhsa_exception_fp_denorm_src 0
		.amdhsa_exception_fp_ieee_div_zero 0
		.amdhsa_exception_fp_ieee_overflow 0
		.amdhsa_exception_fp_ieee_underflow 0
		.amdhsa_exception_fp_ieee_inexact 0
		.amdhsa_exception_int_div_zero 0
	.end_amdhsa_kernel
	.text
.Lfunc_end0:
	.size	fft_rtc_back_len1092_factors_2_2_13_7_3_wgs_52_tpt_52_halfLds_half_op_CI_CI_unitstride_sbrr_R2C_dirReg, .Lfunc_end0-fft_rtc_back_len1092_factors_2_2_13_7_3_wgs_52_tpt_52_halfLds_half_op_CI_CI_unitstride_sbrr_R2C_dirReg
                                        ; -- End function
	.section	.AMDGPU.csdata,"",@progbits
; Kernel info:
; codeLenInByte = 18244
; NumSgprs: 34
; NumVgprs: 146
; ScratchSize: 0
; MemoryBound: 0
; FloatMode: 240
; IeeeMode: 1
; LDSByteSize: 0 bytes/workgroup (compile time only)
; SGPRBlocks: 4
; VGPRBlocks: 36
; NumSGPRsForWavesPerEU: 34
; NumVGPRsForWavesPerEU: 146
; Occupancy: 1
; WaveLimiterHint : 1
; COMPUTE_PGM_RSRC2:SCRATCH_EN: 0
; COMPUTE_PGM_RSRC2:USER_SGPR: 6
; COMPUTE_PGM_RSRC2:TRAP_HANDLER: 0
; COMPUTE_PGM_RSRC2:TGID_X_EN: 1
; COMPUTE_PGM_RSRC2:TGID_Y_EN: 0
; COMPUTE_PGM_RSRC2:TGID_Z_EN: 0
; COMPUTE_PGM_RSRC2:TIDIG_COMP_CNT: 0
	.type	__hip_cuid_1cae831846884968,@object ; @__hip_cuid_1cae831846884968
	.section	.bss,"aw",@nobits
	.globl	__hip_cuid_1cae831846884968
__hip_cuid_1cae831846884968:
	.byte	0                               ; 0x0
	.size	__hip_cuid_1cae831846884968, 1

	.ident	"AMD clang version 19.0.0git (https://github.com/RadeonOpenCompute/llvm-project roc-6.4.0 25133 c7fe45cf4b819c5991fe208aaa96edf142730f1d)"
	.section	".note.GNU-stack","",@progbits
	.addrsig
	.addrsig_sym __hip_cuid_1cae831846884968
	.amdgpu_metadata
---
amdhsa.kernels:
  - .args:
      - .actual_access:  read_only
        .address_space:  global
        .offset:         0
        .size:           8
        .value_kind:     global_buffer
      - .offset:         8
        .size:           8
        .value_kind:     by_value
      - .actual_access:  read_only
        .address_space:  global
        .offset:         16
        .size:           8
        .value_kind:     global_buffer
      - .actual_access:  read_only
        .address_space:  global
        .offset:         24
        .size:           8
        .value_kind:     global_buffer
      - .actual_access:  read_only
        .address_space:  global
        .offset:         32
        .size:           8
        .value_kind:     global_buffer
      - .offset:         40
        .size:           8
        .value_kind:     by_value
      - .actual_access:  read_only
        .address_space:  global
        .offset:         48
        .size:           8
        .value_kind:     global_buffer
      - .actual_access:  read_only
        .address_space:  global
        .offset:         56
        .size:           8
        .value_kind:     global_buffer
      - .offset:         64
        .size:           4
        .value_kind:     by_value
      - .actual_access:  read_only
        .address_space:  global
        .offset:         72
        .size:           8
        .value_kind:     global_buffer
      - .actual_access:  read_only
        .address_space:  global
        .offset:         80
        .size:           8
        .value_kind:     global_buffer
      - .actual_access:  read_only
        .address_space:  global
        .offset:         88
        .size:           8
        .value_kind:     global_buffer
      - .actual_access:  write_only
        .address_space:  global
        .offset:         96
        .size:           8
        .value_kind:     global_buffer
    .group_segment_fixed_size: 0
    .kernarg_segment_align: 8
    .kernarg_segment_size: 104
    .language:       OpenCL C
    .language_version:
      - 2
      - 0
    .max_flat_workgroup_size: 52
    .name:           fft_rtc_back_len1092_factors_2_2_13_7_3_wgs_52_tpt_52_halfLds_half_op_CI_CI_unitstride_sbrr_R2C_dirReg
    .private_segment_fixed_size: 0
    .sgpr_count:     34
    .sgpr_spill_count: 0
    .symbol:         fft_rtc_back_len1092_factors_2_2_13_7_3_wgs_52_tpt_52_halfLds_half_op_CI_CI_unitstride_sbrr_R2C_dirReg.kd
    .uniform_work_group_size: 1
    .uses_dynamic_stack: false
    .vgpr_count:     146
    .vgpr_spill_count: 0
    .wavefront_size: 64
amdhsa.target:   amdgcn-amd-amdhsa--gfx906
amdhsa.version:
  - 1
  - 2
...

	.end_amdgpu_metadata
